;; amdgpu-corpus repo=ROCm/rocFFT kind=compiled arch=gfx1201 opt=O3
	.text
	.amdgcn_target "amdgcn-amd-amdhsa--gfx1201"
	.amdhsa_code_object_version 6
	.protected	bluestein_single_fwd_len98_dim1_half_op_CI_CI ; -- Begin function bluestein_single_fwd_len98_dim1_half_op_CI_CI
	.globl	bluestein_single_fwd_len98_dim1_half_op_CI_CI
	.p2align	8
	.type	bluestein_single_fwd_len98_dim1_half_op_CI_CI,@function
bluestein_single_fwd_len98_dim1_half_op_CI_CI: ; @bluestein_single_fwd_len98_dim1_half_op_CI_CI
; %bb.0:
	s_load_b128 s[8:11], s[0:1], 0x28
	v_mul_u32_u24_e32 v1, 0x124a, v0
	s_mov_b32 s2, exec_lo
	s_delay_alu instid0(VALU_DEP_1) | instskip(NEXT) | instid1(VALU_DEP_1)
	v_lshrrev_b32_e32 v1, 16, v1
	v_mad_co_u64_u32 v[10:11], null, ttmp9, 18, v[1:2]
	v_mov_b32_e32 v11, 0
	s_wait_kmcnt 0x0
	s_delay_alu instid0(VALU_DEP_1)
	v_cmpx_gt_u64_e64 s[8:9], v[10:11]
	s_cbranch_execz .LBB0_15
; %bb.1:
	s_clause 0x1
	s_load_b128 s[4:7], s[0:1], 0x18
	s_load_b64 s[16:17], s[0:1], 0x0
	v_mul_lo_u16 v1, v1, 14
	s_movk_i32 s2, 0xffdd
	s_mov_b32 s3, -1
	s_delay_alu instid0(VALU_DEP_1) | instskip(NEXT) | instid1(VALU_DEP_1)
	v_sub_nc_u16 v7, v0, v1
	v_and_b32_e32 v30, 0xffff, v7
	s_wait_kmcnt 0x0
	s_load_b128 s[12:15], s[4:5], 0x0
	s_wait_kmcnt 0x0
	v_mad_co_u64_u32 v[0:1], null, s14, v10, 0
	v_mad_co_u64_u32 v[2:3], null, s12, v30, 0
	s_mul_u64 s[4:5], s[12:13], 49
	s_mul_u64 s[2:3], s[12:13], s[2:3]
	s_delay_alu instid0(SALU_CYCLE_1) | instskip(NEXT) | instid1(VALU_DEP_1)
	s_lshl_b64 s[2:3], s[2:3], 2
	v_mad_co_u64_u32 v[4:5], null, s15, v10, v[1:2]
	s_delay_alu instid0(VALU_DEP_1) | instskip(NEXT) | instid1(VALU_DEP_3)
	v_mov_b32_e32 v1, v4
	v_mad_co_u64_u32 v[5:6], null, s13, v30, v[3:4]
	v_lshlrev_b32_e32 v17, 2, v30
	s_clause 0x3
	global_load_b32 v35, v17, s[16:17]
	global_load_b32 v31, v17, s[16:17] offset:56
	global_load_b32 v28, v17, s[16:17] offset:252
	;; [unrolled: 1-line block ×3, first 2 shown]
	v_mov_b32_e32 v3, v5
	v_lshlrev_b64_e32 v[0:1], 2, v[0:1]
	s_clause 0x1
	global_load_b32 v33, v17, s[16:17] offset:196
	global_load_b32 v26, v17, s[16:17] offset:112
	v_add_co_u32 v8, s12, s16, v17
	v_lshlrev_b64_e32 v[2:3], 2, v[2:3]
	s_wait_alu 0xf1ff
	v_add_co_ci_u32_e64 v9, null, s17, 0, s12
	v_add_co_u32 v0, vcc_lo, s10, v0
	v_add_co_ci_u32_e32 v1, vcc_lo, s11, v1, vcc_lo
	s_lshl_b64 s[10:11], s[4:5], 2
	s_delay_alu instid0(VALU_DEP_2) | instskip(SKIP_1) | instid1(VALU_DEP_2)
	v_add_co_u32 v0, vcc_lo, v0, v2
	s_wait_alu 0xfffd
	v_add_co_ci_u32_e32 v1, vcc_lo, v1, v3, vcc_lo
	s_wait_alu 0xfffe
	s_delay_alu instid0(VALU_DEP_2) | instskip(SKIP_1) | instid1(VALU_DEP_2)
	v_add_co_u32 v2, vcc_lo, v0, s10
	s_wait_alu 0xfffd
	v_add_co_ci_u32_e32 v3, vcc_lo, s11, v1, vcc_lo
	s_clause 0x1
	global_load_b32 v6, v[0:1], off
	global_load_b32 v11, v[2:3], off
	v_add_co_u32 v0, vcc_lo, v2, s2
	s_wait_alu 0xfffd
	v_add_co_ci_u32_e32 v1, vcc_lo, s3, v3, vcc_lo
	s_delay_alu instid0(VALU_DEP_2) | instskip(SKIP_1) | instid1(VALU_DEP_2)
	v_add_co_u32 v2, vcc_lo, v0, s10
	s_wait_alu 0xfffd
	v_add_co_ci_u32_e32 v3, vcc_lo, s11, v1, vcc_lo
	global_load_b32 v12, v[0:1], off
	v_add_co_u32 v4, vcc_lo, v2, s2
	s_wait_alu 0xfffd
	v_add_co_ci_u32_e32 v5, vcc_lo, s3, v3, vcc_lo
	s_delay_alu instid0(VALU_DEP_2) | instskip(SKIP_1) | instid1(VALU_DEP_2)
	v_add_co_u32 v0, vcc_lo, v4, s10
	s_wait_alu 0xfffd
	v_add_co_ci_u32_e32 v1, vcc_lo, s11, v5, vcc_lo
	s_clause 0x1
	global_load_b32 v2, v[2:3], off
	global_load_b32 v3, v[4:5], off
	;; [unrolled: 1-line block ×3, first 2 shown]
	v_mul_hi_u32 v5, 0x38e38e39, v10
	s_load_b64 s[8:9], s[0:1], 0x38
	s_load_b128 s[4:7], s[6:7], 0x0
	v_cmp_gt_u16_e32 vcc_lo, 7, v7
	s_delay_alu instid0(VALU_DEP_2) | instskip(NEXT) | instid1(VALU_DEP_1)
	v_lshrrev_b32_e32 v5, 2, v5
	v_mul_lo_u32 v5, v5, 18
	s_delay_alu instid0(VALU_DEP_1) | instskip(NEXT) | instid1(VALU_DEP_1)
	v_sub_nc_u32_e32 v5, v10, v5
	v_mul_u32_u24_e32 v5, 0x62, v5
	s_delay_alu instid0(VALU_DEP_1) | instskip(NEXT) | instid1(VALU_DEP_1)
	v_lshlrev_b32_e32 v15, 2, v5
	v_add_nc_u32_e32 v23, v17, v15
	s_wait_loadcnt 0xb
	v_lshrrev_b32_e32 v36, 16, v35
	s_wait_loadcnt 0xa
	v_lshrrev_b32_e32 v32, 16, v31
	;; [unrolled: 2-line block ×7, first 2 shown]
	v_mul_f16_e32 v13, v36, v6
	s_wait_loadcnt 0x4
	v_lshrrev_b32_e32 v16, 16, v11
	s_delay_alu instid0(VALU_DEP_3) | instskip(NEXT) | instid1(VALU_DEP_3)
	v_mul_f16_e32 v14, v36, v5
	v_fma_f16 v5, v35, v5, -v13
	v_mul_f16_e32 v13, v34, v11
	s_delay_alu instid0(VALU_DEP_4) | instskip(NEXT) | instid1(VALU_DEP_4)
	v_mul_f16_e32 v18, v34, v16
	v_fmac_f16_e32 v14, v35, v6
	s_delay_alu instid0(VALU_DEP_3)
	v_fma_f16 v13, v33, v16, -v13
	s_wait_loadcnt 0x3
	v_lshrrev_b32_e32 v6, 16, v12
	v_mul_f16_e32 v19, v32, v12
	v_pack_b32_f16 v5, v14, v5
	v_fmac_f16_e32 v18, v33, v11
	s_delay_alu instid0(VALU_DEP_4) | instskip(NEXT) | instid1(VALU_DEP_4)
	v_mul_f16_e32 v14, v32, v6
	v_fma_f16 v6, v31, v6, -v19
	s_wait_loadcnt 0x2
	v_lshrrev_b32_e32 v11, 16, v2
	v_mul_f16_e32 v16, v29, v2
	v_fmac_f16_e32 v14, v31, v12
	s_wait_loadcnt 0x1
	v_lshrrev_b32_e32 v12, 16, v3
	s_wait_loadcnt 0x0
	v_lshrrev_b32_e32 v19, 16, v4
	v_mul_f16_e32 v20, v29, v11
	v_fma_f16 v11, v28, v11, -v16
	v_mul_f16_e32 v16, v27, v3
	v_mul_f16_e32 v21, v27, v12
	v_mul_f16_e32 v22, v25, v19
	v_mul_f16_e32 v37, v25, v4
	v_fmac_f16_e32 v20, v28, v2
	v_fma_f16 v2, v26, v12, -v16
	v_fmac_f16_e32 v21, v26, v3
	v_fmac_f16_e32 v22, v24, v4
	v_fma_f16 v3, v24, v19, -v37
	v_pack_b32_f16 v4, v18, v13
	v_pack_b32_f16 v6, v14, v6
	;; [unrolled: 1-line block ×5, first 2 shown]
	ds_store_b32 v23, v4 offset:196
	ds_store_2addr_b32 v23, v5, v6 offset1:14
	ds_store_b32 v23, v2 offset:112
	ds_store_2addr_b32 v23, v11, v3 offset0:63 offset1:77
	s_and_saveexec_b32 s12, vcc_lo
	s_cbranch_execz .LBB0_3
; %bb.2:
	v_add_co_u32 v0, s2, v0, s2
	s_wait_alu 0xf1ff
	v_add_co_ci_u32_e64 v1, s2, s3, v1, s2
	s_delay_alu instid0(VALU_DEP_2) | instskip(SKIP_1) | instid1(VALU_DEP_2)
	v_add_co_u32 v2, s2, v0, s10
	s_wait_alu 0xf1ff
	v_add_co_ci_u32_e64 v3, s2, s11, v1, s2
	s_clause 0x1
	global_load_b32 v4, v[8:9], off offset:168
	global_load_b32 v5, v[8:9], off offset:364
	global_load_b32 v0, v[0:1], off
	global_load_b32 v1, v[2:3], off
	s_wait_loadcnt 0x3
	v_lshrrev_b32_e32 v2, 16, v4
	s_wait_loadcnt 0x2
	v_lshrrev_b32_e32 v3, 16, v5
	;; [unrolled: 2-line block ×4, first 2 shown]
	v_mul_f16_e32 v11, v2, v0
	s_delay_alu instid0(VALU_DEP_3) | instskip(NEXT) | instid1(VALU_DEP_3)
	v_mul_f16_e32 v2, v2, v6
	v_mul_f16_e32 v12, v3, v7
	;; [unrolled: 1-line block ×3, first 2 shown]
	s_delay_alu instid0(VALU_DEP_4) | instskip(NEXT) | instid1(VALU_DEP_4)
	v_fma_f16 v6, v4, v6, -v11
	v_fmac_f16_e32 v2, v4, v0
	s_delay_alu instid0(VALU_DEP_4) | instskip(NEXT) | instid1(VALU_DEP_4)
	v_fmac_f16_e32 v12, v5, v1
	v_fma_f16 v0, v5, v7, -v3
	s_delay_alu instid0(VALU_DEP_3) | instskip(NEXT) | instid1(VALU_DEP_2)
	v_pack_b32_f16 v1, v2, v6
	v_pack_b32_f16 v0, v12, v0
	ds_store_2addr_b32 v23, v1, v0 offset0:42 offset1:91
.LBB0_3:
	s_wait_alu 0xfffe
	s_or_b32 exec_lo, exec_lo, s12
	global_wb scope:SCOPE_SE
	s_wait_dscnt 0x0
	s_wait_kmcnt 0x0
	s_barrier_signal -1
	s_barrier_wait -1
	global_inv scope:SCOPE_SE
	ds_load_2addr_b32 v[4:5], v23 offset1:14
	ds_load_2addr_b32 v[2:3], v23 offset0:28 offset1:49
	ds_load_2addr_b32 v[6:7], v23 offset0:63 offset1:77
	s_load_b64 s[0:1], s[0:1], 0x8
                                        ; implicit-def: $vgpr0
	s_and_saveexec_b32 s2, vcc_lo
	s_cbranch_execz .LBB0_5
; %bb.4:
	ds_load_2addr_b32 v[0:1], v23 offset0:42 offset1:91
.LBB0_5:
	s_wait_alu 0xfffe
	s_or_b32 exec_lo, exec_lo, s2
	v_lshlrev_b16 v11, 1, v30
	v_add_co_u32 v13, null, v30, 42
	s_wait_dscnt 0x1
	v_pk_add_f16 v12, v4, v3 neg_lo:[0,1] neg_hi:[0,1]
	s_wait_dscnt 0x0
	v_pk_add_f16 v6, v5, v6 neg_lo:[0,1] neg_hi:[0,1]
	v_and_b32_e32 v11, 0xffff, v11
	v_pk_add_f16 v3, v2, v7 neg_lo:[0,1] neg_hi:[0,1]
	v_pk_add_f16 v14, v0, v1 neg_lo:[0,1] neg_hi:[0,1]
	v_lshl_add_u32 v40, v30, 3, v15
	v_lshl_add_u32 v37, v13, 3, v15
	;; [unrolled: 1-line block ×3, first 2 shown]
	v_pk_fma_f16 v11, v4, 2.0, v12 op_sel_hi:[1,0,1] neg_lo:[0,0,1] neg_hi:[0,0,1]
	v_pk_fma_f16 v5, v5, 2.0, v6 op_sel_hi:[1,0,1] neg_lo:[0,0,1] neg_hi:[0,0,1]
	;; [unrolled: 1-line block ×3, first 2 shown]
	global_wb scope:SCOPE_SE
	s_wait_kmcnt 0x0
	s_barrier_signal -1
	s_barrier_wait -1
	global_inv scope:SCOPE_SE
	ds_store_b64 v38, v[11:12]
	ds_store_2addr_b64 v40, v[5:6], v[2:3] offset0:14 offset1:28
	s_and_saveexec_b32 s2, vcc_lo
	s_cbranch_execz .LBB0_7
; %bb.6:
	v_pk_fma_f16 v13, v0, 2.0, v14 op_sel_hi:[1,0,1] neg_lo:[0,0,1] neg_hi:[0,0,1]
	ds_store_b64 v37, v[13:14]
.LBB0_7:
	s_wait_alu 0xfffe
	s_or_b32 exec_lo, exec_lo, s2
	v_and_b32_e32 v13, 1, v30
	global_wb scope:SCOPE_SE
	s_wait_dscnt 0x0
	s_barrier_signal -1
	s_barrier_wait -1
	global_inv scope:SCOPE_SE
	v_mul_u32_u24_e32 v0, 6, v13
	v_lshrrev_b32_e32 v16, 1, v30
	v_mad_co_u64_u32 v[20:21], null, v30, 24, s[0:1]
	s_delay_alu instid0(VALU_DEP_3) | instskip(NEXT) | instid1(VALU_DEP_3)
	v_lshlrev_b32_e32 v4, 2, v0
	v_mul_u32_u24_e32 v16, 14, v16
	s_clause 0x1
	global_load_b128 v[0:3], v4, s[0:1]
	global_load_b64 v[11:12], v4, s[0:1] offset:16
	ds_load_2addr_b32 v[4:5], v23 offset1:14
	ds_load_2addr_b32 v[6:7], v23 offset0:28 offset1:42
	ds_load_2addr_b32 v[18:19], v23 offset0:56 offset1:70
	ds_load_b32 v22, v23 offset:336
	v_or_b32_e32 v13, v16, v13
	global_wb scope:SCOPE_SE
	s_wait_loadcnt_dscnt 0x0
	s_barrier_signal -1
	s_barrier_wait -1
	global_inv scope:SCOPE_SE
	v_lshl_add_u32 v39, v13, 2, v15
	s_add_nc_u64 s[0:1], s[16:17], 0x188
	v_lshrrev_b32_e32 v15, 16, v5
	v_lshrrev_b32_e32 v16, 16, v6
	;; [unrolled: 1-line block ×13, first 2 shown]
	v_mul_f16_e32 v51, v15, v49
	v_mul_f16_e32 v52, v5, v49
	;; [unrolled: 1-line block ×12, first 2 shown]
	v_fma_f16 v5, v5, v0, -v51
	v_fmac_f16_e32 v52, v15, v0
	v_fma_f16 v6, v6, v1, -v53
	v_fmac_f16_e32 v54, v16, v1
	v_fma_f16 v15, v18, v3, -v57
	v_fma_f16 v16, v22, v12, -v61
	v_fmac_f16_e32 v62, v50, v12
	v_fma_f16 v18, v19, v11, -v59
	v_fmac_f16_e32 v60, v43, v11
	;; [unrolled: 2-line block ×3, first 2 shown]
	v_fmac_f16_e32 v58, v42, v3
	v_add_f16_e32 v19, v5, v16
	v_add_f16_e32 v22, v52, v62
	;; [unrolled: 1-line block ×4, first 2 shown]
	v_sub_f16_e32 v5, v5, v16
	v_sub_f16_e32 v16, v52, v62
	;; [unrolled: 1-line block ×4, first 2 shown]
	v_add_f16_e32 v43, v7, v15
	v_add_f16_e32 v50, v56, v58
	v_sub_f16_e32 v7, v15, v7
	v_sub_f16_e32 v15, v58, v56
	v_add_f16_e32 v51, v41, v19
	v_add_f16_e32 v52, v42, v22
	v_sub_f16_e32 v53, v41, v19
	v_sub_f16_e32 v54, v42, v22
	;; [unrolled: 1-line block ×6, first 2 shown]
	v_add_f16_e32 v55, v7, v6
	v_add_f16_e32 v56, v15, v18
	v_sub_f16_e32 v57, v7, v6
	v_sub_f16_e32 v58, v15, v18
	;; [unrolled: 1-line block ×3, first 2 shown]
	v_add_f16_e32 v43, v43, v51
	v_add_f16_e32 v50, v50, v52
	v_sub_f16_e32 v18, v18, v16
	v_sub_f16_e32 v7, v5, v7
	;; [unrolled: 1-line block ×3, first 2 shown]
	v_add_f16_e32 v5, v55, v5
	v_add_f16_e32 v16, v56, v16
	v_mul_f16_e32 v19, 0x3a52, v19
	v_mul_f16_e32 v22, 0x3a52, v22
	;; [unrolled: 1-line block ×7, first 2 shown]
	v_add_f16_e32 v4, v4, v43
	v_add_f16_e32 v13, v13, v50
	v_mul_f16_e32 v58, 0x3b00, v18
	v_fmamk_f16 v41, v41, 0x2b26, v19
	v_fmamk_f16 v42, v42, 0x2b26, v22
	v_fma_f16 v51, v53, 0x39e0, -v51
	v_fma_f16 v52, v54, 0x39e0, -v52
	;; [unrolled: 1-line block ×4, first 2 shown]
	v_fmamk_f16 v53, v7, 0x3574, v55
	v_fmamk_f16 v54, v15, 0x3574, v56
	v_fma_f16 v6, v6, 0x3b00, -v55
	v_fma_f16 v7, v7, 0xb574, -v57
	v_fmamk_f16 v43, v43, 0xbcab, v4
	v_fmamk_f16 v50, v50, 0xbcab, v13
	v_fma_f16 v18, v18, 0x3b00, -v56
	v_fma_f16 v15, v15, 0xb574, -v58
	v_fmac_f16_e32 v53, 0x370e, v5
	v_fmac_f16_e32 v54, 0x370e, v16
	;; [unrolled: 1-line block ×4, first 2 shown]
	v_pack_b32_f16 v4, v4, v13
	v_add_f16_e32 v5, v41, v43
	v_add_f16_e32 v13, v42, v50
	v_fmac_f16_e32 v18, 0x370e, v16
	v_fmac_f16_e32 v15, 0x370e, v16
	v_add_f16_e32 v16, v51, v43
	v_add_f16_e32 v19, v19, v43
	;; [unrolled: 1-line block ×5, first 2 shown]
	v_sub_f16_e32 v43, v13, v53
	v_add_f16_e32 v50, v15, v19
	v_sub_f16_e32 v51, v22, v7
	v_sub_f16_e32 v52, v16, v18
	v_add_f16_e32 v55, v6, v41
	v_add_f16_e32 v16, v18, v16
	v_sub_f16_e32 v6, v41, v6
	v_sub_f16_e32 v15, v19, v15
	v_add_f16_e32 v7, v7, v22
	v_sub_f16_e32 v5, v5, v54
	v_add_f16_e32 v13, v53, v13
	v_pack_b32_f16 v18, v42, v43
	v_pack_b32_f16 v19, v50, v51
	;; [unrolled: 1-line block ×6, first 2 shown]
	ds_store_2addr_b32 v39, v4, v18 offset1:2
	ds_store_2addr_b32 v39, v19, v22 offset0:4 offset1:6
	ds_store_2addr_b32 v39, v6, v7 offset0:8 offset1:10
	ds_store_b32 v39, v5 offset:48
	global_wb scope:SCOPE_SE
	s_wait_dscnt 0x0
	s_barrier_signal -1
	s_barrier_wait -1
	global_inv scope:SCOPE_SE
	s_clause 0x1
	global_load_b128 v[4:7], v[20:21], off offset:48
	global_load_b64 v[15:16], v[20:21], off offset:64
	ds_load_2addr_b32 v[18:19], v23 offset1:14
	ds_load_2addr_b32 v[20:21], v23 offset0:28 offset1:42
	ds_load_2addr_b32 v[53:54], v23 offset0:56 offset1:70
	ds_load_b32 v13, v23 offset:336
	s_wait_dscnt 0x3
	v_lshrrev_b32_e32 v55, 16, v19
	s_wait_dscnt 0x2
	v_lshrrev_b32_e32 v56, 16, v20
	;; [unrolled: 2-line block ×4, first 2 shown]
	v_lshrrev_b32_e32 v57, 16, v21
	v_lshrrev_b32_e32 v58, 16, v53
	;; [unrolled: 1-line block ×3, first 2 shown]
	s_wait_loadcnt 0x1
	v_lshrrev_b32_e32 v52, 16, v4
	v_lshrrev_b32_e32 v51, 16, v5
	s_wait_loadcnt 0x0
	v_lshrrev_b32_e32 v41, 16, v15
	v_lshrrev_b32_e32 v43, 16, v16
	;; [unrolled: 1-line block ×4, first 2 shown]
	v_mul_f16_e32 v61, v55, v52
	v_mul_f16_e32 v62, v19, v52
	;; [unrolled: 1-line block ×12, first 2 shown]
	v_fma_f16 v19, v19, v4, -v61
	v_fmac_f16_e32 v62, v55, v4
	v_fma_f16 v20, v20, v5, -v63
	v_fmac_f16_e32 v64, v56, v5
	;; [unrolled: 2-line block ×6, first 2 shown]
	v_add_f16_e32 v55, v19, v13
	v_add_f16_e32 v56, v62, v72
	;; [unrolled: 1-line block ×4, first 2 shown]
	v_sub_f16_e32 v13, v19, v13
	v_sub_f16_e32 v19, v62, v72
	;; [unrolled: 1-line block ×4, first 2 shown]
	v_add_f16_e32 v59, v21, v53
	v_add_f16_e32 v60, v66, v68
	v_sub_f16_e32 v21, v53, v21
	v_sub_f16_e32 v53, v68, v66
	v_add_f16_e32 v61, v57, v55
	v_add_f16_e32 v62, v58, v56
	v_sub_f16_e32 v63, v57, v55
	v_sub_f16_e32 v64, v58, v56
	;; [unrolled: 1-line block ×6, first 2 shown]
	v_add_f16_e32 v65, v21, v20
	v_add_f16_e32 v66, v53, v54
	v_sub_f16_e32 v67, v21, v20
	v_sub_f16_e32 v68, v53, v54
	;; [unrolled: 1-line block ×4, first 2 shown]
	v_add_f16_e32 v59, v59, v61
	v_add_f16_e32 v60, v60, v62
	v_sub_f16_e32 v21, v13, v21
	v_sub_f16_e32 v53, v19, v53
	v_add_f16_e32 v13, v65, v13
	v_add_f16_e32 v19, v66, v19
	v_mul_f16_e32 v55, 0x3a52, v55
	v_mul_f16_e32 v56, 0x3a52, v56
	;; [unrolled: 1-line block ×8, first 2 shown]
	v_add_f16_e32 v18, v18, v59
	v_add_f16_e32 v22, v22, v60
	v_fmamk_f16 v57, v57, 0x2b26, v55
	v_fmamk_f16 v58, v58, 0x2b26, v56
	v_fma_f16 v61, v63, 0x39e0, -v61
	v_fma_f16 v62, v64, 0x39e0, -v62
	;; [unrolled: 1-line block ×4, first 2 shown]
	v_fmamk_f16 v63, v21, 0x3574, v65
	v_fmamk_f16 v64, v53, 0x3574, v66
	v_fma_f16 v20, v20, 0x3b00, -v65
	v_fma_f16 v54, v54, 0x3b00, -v66
	v_fma_f16 v21, v21, 0xb574, -v67
	v_fma_f16 v53, v53, 0xb574, -v68
	v_fmamk_f16 v59, v59, 0xbcab, v18
	v_fmamk_f16 v60, v60, 0xbcab, v22
	v_fmac_f16_e32 v63, 0x370e, v13
	v_fmac_f16_e32 v64, 0x370e, v19
	;; [unrolled: 1-line block ×6, first 2 shown]
	v_add_f16_e32 v13, v57, v59
	v_add_f16_e32 v19, v58, v60
	v_pack_b32_f16 v18, v18, v22
	v_add_f16_e32 v22, v61, v59
	v_add_f16_e32 v55, v55, v59
	;; [unrolled: 1-line block ×5, first 2 shown]
	v_sub_f16_e32 v59, v19, v63
	v_add_f16_e32 v60, v53, v55
	v_sub_f16_e32 v61, v56, v21
	v_sub_f16_e32 v62, v22, v54
	v_add_f16_e32 v65, v20, v57
	v_add_f16_e32 v22, v54, v22
	v_sub_f16_e32 v20, v57, v20
	v_sub_f16_e32 v54, v55, v53
	v_add_f16_e32 v21, v21, v56
	v_sub_f16_e32 v13, v13, v64
	v_add_f16_e32 v53, v63, v19
	v_pack_b32_f16 v19, v58, v59
	v_pack_b32_f16 v55, v60, v61
	;; [unrolled: 1-line block ×6, first 2 shown]
	ds_store_2addr_b32 v23, v18, v19 offset1:14
	ds_store_2addr_b32 v23, v55, v56 offset0:28 offset1:42
	ds_store_2addr_b32 v23, v20, v21 offset0:56 offset1:70
	ds_store_b32 v23, v22 offset:336
	global_wb scope:SCOPE_SE
	s_wait_dscnt 0x0
	s_barrier_signal -1
	s_barrier_wait -1
	global_inv scope:SCOPE_SE
	s_clause 0x5
	global_load_b32 v22, v[8:9], off offset:392
	global_load_b32 v56, v17, s[0:1] offset:56
	global_load_b32 v57, v17, s[0:1] offset:196
	;; [unrolled: 1-line block ×5, first 2 shown]
	ds_load_2addr_b32 v[18:19], v23 offset1:14
	ds_load_2addr_b32 v[20:21], v23 offset0:28 offset1:49
	ds_load_2addr_b32 v[54:55], v23 offset0:63 offset1:77
	s_wait_dscnt 0x2
	v_lshrrev_b32_e32 v61, 16, v18
	v_lshrrev_b32_e32 v63, 16, v19
	s_wait_dscnt 0x1
	v_lshrrev_b32_e32 v62, 16, v21
	v_lshrrev_b32_e32 v65, 16, v20
	;; [unrolled: 3-line block ×3, first 2 shown]
	s_wait_loadcnt 0x5
	v_lshrrev_b32_e32 v67, 16, v22
	s_wait_loadcnt 0x4
	v_lshrrev_b32_e32 v69, 16, v56
	;; [unrolled: 2-line block ×6, first 2 shown]
	v_mul_f16_e32 v73, v61, v67
	v_mul_f16_e32 v67, v18, v67
	v_mul_f16_e32 v75, v63, v69
	v_mul_f16_e32 v69, v19, v69
	v_mul_f16_e32 v74, v62, v68
	v_mul_f16_e32 v68, v21, v68
	v_mul_f16_e32 v77, v65, v71
	v_mul_f16_e32 v71, v20, v71
	v_mul_f16_e32 v76, v64, v70
	v_mul_f16_e32 v70, v54, v70
	v_mul_f16_e32 v78, v66, v72
	v_mul_f16_e32 v72, v55, v72
	v_fma_f16 v18, v18, v22, -v73
	v_fmac_f16_e32 v67, v61, v22
	v_fma_f16 v19, v19, v56, -v75
	v_fmac_f16_e32 v69, v63, v56
	v_fma_f16 v21, v21, v57, -v74
	v_fmac_f16_e32 v68, v62, v57
	v_fma_f16 v20, v20, v60, -v77
	v_fmac_f16_e32 v71, v65, v60
	v_fma_f16 v22, v54, v58, -v76
	v_fmac_f16_e32 v70, v64, v58
	v_fma_f16 v54, v55, v59, -v78
	v_fmac_f16_e32 v72, v66, v59
	v_pack_b32_f16 v18, v18, v67
	v_pack_b32_f16 v19, v19, v69
	;; [unrolled: 1-line block ×6, first 2 shown]
	ds_store_2addr_b32 v23, v18, v19 offset1:14
	ds_store_2addr_b32 v23, v20, v21 offset0:28 offset1:49
	ds_store_2addr_b32 v23, v22, v54 offset0:63 offset1:77
	s_and_saveexec_b32 s2, vcc_lo
	s_cbranch_execz .LBB0_9
; %bb.8:
	s_wait_alu 0xfffe
	v_add_co_u32 v17, s0, s0, v17
	s_wait_alu 0xf1ff
	v_add_co_ci_u32_e64 v18, null, s1, 0, s0
	s_clause 0x1
	global_load_b32 v19, v[17:18], off offset:168
	global_load_b32 v20, v[17:18], off offset:364
	ds_load_2addr_b32 v[17:18], v23 offset0:42 offset1:91
	s_wait_dscnt 0x0
	v_lshrrev_b32_e32 v21, 16, v17
	v_lshrrev_b32_e32 v54, 16, v18
	s_wait_loadcnt 0x1
	v_lshrrev_b32_e32 v22, 16, v19
	s_wait_loadcnt 0x0
	v_lshrrev_b32_e32 v55, 16, v20
	s_delay_alu instid0(VALU_DEP_2) | instskip(SKIP_1) | instid1(VALU_DEP_3)
	v_mul_f16_e32 v56, v21, v22
	v_mul_f16_e32 v22, v17, v22
	;; [unrolled: 1-line block ×4, first 2 shown]
	s_delay_alu instid0(VALU_DEP_4) | instskip(NEXT) | instid1(VALU_DEP_4)
	v_fma_f16 v17, v17, v19, -v56
	v_fmac_f16_e32 v22, v21, v19
	s_delay_alu instid0(VALU_DEP_4) | instskip(NEXT) | instid1(VALU_DEP_4)
	v_fma_f16 v18, v18, v20, -v57
	v_fmac_f16_e32 v55, v54, v20
	s_delay_alu instid0(VALU_DEP_3) | instskip(NEXT) | instid1(VALU_DEP_2)
	v_pack_b32_f16 v17, v17, v22
	v_pack_b32_f16 v18, v18, v55
	ds_store_2addr_b32 v23, v17, v18 offset0:42 offset1:91
.LBB0_9:
	s_wait_alu 0xfffe
	s_or_b32 exec_lo, exec_lo, s2
	global_wb scope:SCOPE_SE
	s_wait_dscnt 0x0
	s_barrier_signal -1
	s_barrier_wait -1
	global_inv scope:SCOPE_SE
	ds_load_2addr_b32 v[19:20], v23 offset1:14
	ds_load_2addr_b32 v[17:18], v23 offset0:28 offset1:49
	ds_load_2addr_b32 v[21:22], v23 offset0:63 offset1:77
	v_add_nc_u32_e32 v54, 0x70, v40
	v_add_nc_u32_e32 v40, 0xe0, v40
	s_and_saveexec_b32 s0, vcc_lo
	s_cbranch_execz .LBB0_11
; %bb.10:
	ds_load_2addr_b32 v[13:14], v23 offset0:42 offset1:91
	s_wait_dscnt 0x0
	v_lshrrev_b32_e32 v53, 16, v13
.LBB0_11:
	s_wait_alu 0xfffe
	s_or_b32 exec_lo, exec_lo, s0
	s_wait_dscnt 0x1
	v_pk_add_f16 v56, v19, v18 neg_lo:[0,1] neg_hi:[0,1]
	s_wait_dscnt 0x0
	v_pk_add_f16 v21, v20, v21 neg_lo:[0,1] neg_hi:[0,1]
	v_pk_add_f16 v18, v17, v22 neg_lo:[0,1] neg_hi:[0,1]
	global_wb scope:SCOPE_SE
	s_barrier_signal -1
	v_pk_fma_f16 v55, v19, 2.0, v56 op_sel_hi:[1,0,1] neg_lo:[0,0,1] neg_hi:[0,0,1]
	v_pk_fma_f16 v20, v20, 2.0, v21 op_sel_hi:[1,0,1] neg_lo:[0,0,1] neg_hi:[0,0,1]
	;; [unrolled: 1-line block ×3, first 2 shown]
	s_barrier_wait -1
	global_inv scope:SCOPE_SE
	ds_store_b64 v38, v[55:56]
	ds_store_b64 v54, v[20:21]
	;; [unrolled: 1-line block ×3, first 2 shown]
	s_and_saveexec_b32 s0, vcc_lo
	s_cbranch_execz .LBB0_13
; %bb.12:
	v_lshrrev_b32_e32 v17, 16, v14
	v_sub_f16_e32 v14, v13, v14
	s_delay_alu instid0(VALU_DEP_2) | instskip(NEXT) | instid1(VALU_DEP_2)
	v_sub_f16_e32 v17, v53, v17
	v_fma_f16 v13, v13, 2.0, -v14
	s_delay_alu instid0(VALU_DEP_2) | instskip(SKIP_1) | instid1(VALU_DEP_2)
	v_fma_f16 v18, v53, 2.0, -v17
	v_pack_b32_f16 v14, v14, v17
	v_pack_b32_f16 v13, v13, v18
	ds_store_b64 v37, v[13:14]
.LBB0_13:
	s_wait_alu 0xfffe
	s_or_b32 exec_lo, exec_lo, s0
	global_wb scope:SCOPE_SE
	s_wait_dscnt 0x0
	s_barrier_signal -1
	s_barrier_wait -1
	global_inv scope:SCOPE_SE
	ds_load_2addr_b32 v[13:14], v23 offset1:14
	ds_load_2addr_b32 v[17:18], v23 offset0:28 offset1:42
	ds_load_2addr_b32 v[19:20], v23 offset0:56 offset1:70
	ds_load_b32 v21, v23 offset:336
	global_wb scope:SCOPE_SE
	s_wait_dscnt 0x0
	s_barrier_signal -1
	s_barrier_wait -1
	global_inv scope:SCOPE_SE
	s_mov_b32 s10, 0xa72f0539
	s_mov_b32 s11, 0x3f84e5e0
	v_lshrrev_b32_e32 v37, 16, v14
	v_lshrrev_b32_e32 v38, 16, v17
	;; [unrolled: 1-line block ×5, first 2 shown]
	v_mul_f16_e32 v57, v48, v17
	v_mul_f16_e32 v58, v46, v18
	;; [unrolled: 1-line block ×4, first 2 shown]
	v_lshrrev_b32_e32 v53, 16, v19
	v_mul_f16_e32 v56, v49, v14
	v_mul_f16_e32 v59, v47, v21
	;; [unrolled: 1-line block ×3, first 2 shown]
	v_fma_f16 v38, v1, v38, -v57
	v_fma_f16 v40, v2, v40, -v58
	v_mul_f16_e32 v47, v47, v55
	v_fmac_f16_e32 v48, v1, v17
	v_fmac_f16_e32 v46, v2, v18
	v_mul_f16_e32 v1, v44, v54
	v_mul_f16_e32 v2, v44, v20
	v_fma_f16 v37, v0, v37, -v56
	v_mul_f16_e32 v56, v45, v53
	v_fmac_f16_e32 v49, v0, v14
	v_mul_f16_e32 v0, v45, v19
	v_fmac_f16_e32 v47, v12, v21
	v_fma_f16 v12, v12, v55, -v59
	v_fmac_f16_e32 v1, v11, v20
	v_fma_f16 v2, v11, v54, -v2
	;; [unrolled: 2-line block ×3, first 2 shown]
	v_add_f16_e32 v3, v49, v47
	v_add_f16_e32 v11, v37, v12
	;; [unrolled: 1-line block ×4, first 2 shown]
	v_sub_f16_e32 v12, v37, v12
	v_sub_f16_e32 v1, v48, v1
	;; [unrolled: 1-line block ×3, first 2 shown]
	v_add_f16_e32 v19, v46, v56
	v_add_f16_e32 v20, v40, v0
	v_sub_f16_e32 v21, v56, v46
	v_sub_f16_e32 v0, v0, v40
	v_add_f16_e32 v37, v17, v3
	v_add_f16_e32 v38, v18, v11
	v_sub_f16_e32 v14, v49, v47
	v_lshrrev_b32_e32 v22, 16, v13
	v_sub_f16_e32 v40, v17, v3
	v_sub_f16_e32 v44, v18, v11
	;; [unrolled: 1-line block ×6, first 2 shown]
	v_add_f16_e32 v45, v21, v1
	v_add_f16_e32 v46, v0, v2
	v_sub_f16_e32 v47, v21, v1
	v_sub_f16_e32 v48, v0, v2
	v_add_f16_e32 v19, v19, v37
	v_add_f16_e32 v20, v20, v38
	v_sub_f16_e32 v1, v1, v14
	v_sub_f16_e32 v2, v2, v12
	;; [unrolled: 1-line block ×4, first 2 shown]
	v_add_f16_e32 v14, v45, v14
	v_add_f16_e32 v12, v46, v12
	;; [unrolled: 1-line block ×4, first 2 shown]
	v_mul_f16_e32 v3, 0x3a52, v3
	v_mul_f16_e32 v11, 0x3a52, v11
	;; [unrolled: 1-line block ×8, first 2 shown]
	v_fmamk_f16 v19, v19, 0xbcab, v13
	v_fmamk_f16 v20, v20, 0xbcab, v22
	;; [unrolled: 1-line block ×4, first 2 shown]
	v_fma_f16 v37, v40, 0x39e0, -v37
	v_fma_f16 v38, v44, 0x39e0, -v38
	;; [unrolled: 1-line block ×4, first 2 shown]
	v_fmamk_f16 v40, v21, 0xb574, v45
	v_fmamk_f16 v44, v0, 0xb574, v46
	v_fma_f16 v1, v1, 0xbb00, -v45
	v_fma_f16 v2, v2, 0xbb00, -v46
	;; [unrolled: 1-line block ×4, first 2 shown]
	v_add_f16_e32 v17, v17, v19
	v_add_f16_e32 v18, v18, v20
	v_fmac_f16_e32 v40, 0xb70e, v14
	v_fmac_f16_e32 v44, 0xb70e, v12
	v_add_f16_e32 v37, v37, v19
	v_add_f16_e32 v38, v38, v20
	;; [unrolled: 1-line block ×4, first 2 shown]
	v_fmac_f16_e32 v1, 0xb70e, v14
	v_fmac_f16_e32 v0, 0xb70e, v12
	;; [unrolled: 1-line block ×4, first 2 shown]
	v_add_f16_e32 v12, v44, v17
	v_sub_f16_e32 v14, v18, v40
	v_add_f16_e32 v19, v0, v3
	v_sub_f16_e32 v20, v11, v21
	v_sub_f16_e32 v45, v37, v2
	v_add_f16_e32 v46, v1, v38
	v_add_f16_e32 v2, v2, v37
	v_sub_f16_e32 v1, v38, v1
	v_sub_f16_e32 v0, v3, v0
	v_add_f16_e32 v3, v21, v11
	v_sub_f16_e32 v11, v17, v44
	v_add_f16_e32 v17, v40, v18
	v_pack_b32_f16 v13, v13, v22
	v_pack_b32_f16 v12, v12, v14
	;; [unrolled: 1-line block ×7, first 2 shown]
	ds_store_2addr_b32 v39, v13, v12 offset1:2
	ds_store_2addr_b32 v39, v14, v18 offset0:4 offset1:6
	ds_store_2addr_b32 v39, v1, v0 offset0:8 offset1:10
	ds_store_b32 v39, v2 offset:48
	global_wb scope:SCOPE_SE
	s_wait_dscnt 0x0
	s_barrier_signal -1
	s_barrier_wait -1
	global_inv scope:SCOPE_SE
	ds_load_2addr_b32 v[0:1], v23 offset1:14
	ds_load_2addr_b32 v[2:3], v23 offset0:28 offset1:42
	ds_load_2addr_b32 v[11:12], v23 offset0:56 offset1:70
	ds_load_b32 v13, v23 offset:336
	s_wait_dscnt 0x3
	v_lshrrev_b32_e32 v14, 16, v1
	s_wait_dscnt 0x2
	v_lshrrev_b32_e32 v18, 16, v2
	v_lshrrev_b32_e32 v19, 16, v3
	v_mul_f16_e32 v21, v52, v1
	s_wait_dscnt 0x1
	v_lshrrev_b32_e32 v22, 16, v11
	v_mul_f16_e32 v20, v52, v14
	v_lshrrev_b32_e32 v37, 16, v12
	s_wait_dscnt 0x0
	v_lshrrev_b32_e32 v38, 16, v13
	v_mul_f16_e32 v39, v50, v3
	v_mul_f16_e32 v40, v42, v22
	v_fmac_f16_e32 v20, v4, v1
	v_fma_f16 v1, v4, v14, -v21
	v_mul_f16_e32 v4, v51, v18
	v_mul_f16_e32 v14, v51, v2
	;; [unrolled: 1-line block ×3, first 2 shown]
	v_fmac_f16_e32 v40, v7, v11
	v_mul_f16_e32 v11, v42, v11
	v_fmac_f16_e32 v4, v5, v2
	v_fma_f16 v2, v5, v18, -v14
	v_fmac_f16_e32 v21, v6, v3
	v_fma_f16 v3, v6, v19, -v39
	v_mul_f16_e32 v5, v43, v38
	v_mul_f16_e32 v6, v43, v13
	;; [unrolled: 1-line block ×4, first 2 shown]
	v_fma_f16 v7, v7, v22, -v11
	v_fmac_f16_e32 v5, v16, v13
	v_fma_f16 v6, v16, v38, -v6
	v_fmac_f16_e32 v14, v15, v12
	v_fma_f16 v11, v15, v37, -v18
	v_sub_f16_e32 v16, v40, v21
	v_add_f16_e32 v12, v20, v5
	v_add_f16_e32 v13, v1, v6
	v_sub_f16_e32 v1, v1, v6
	v_add_f16_e32 v6, v4, v14
	v_add_f16_e32 v15, v2, v11
	v_sub_f16_e32 v4, v4, v14
	v_sub_f16_e32 v2, v2, v11
	v_add_f16_e32 v11, v21, v40
	v_add_f16_e32 v14, v3, v7
	v_sub_f16_e32 v3, v7, v3
	v_add_f16_e32 v7, v6, v12
	v_add_f16_e32 v18, v15, v13
	v_sub_f16_e32 v5, v20, v5
	v_lshrrev_b32_e32 v17, 16, v0
	v_sub_f16_e32 v19, v6, v12
	v_sub_f16_e32 v20, v15, v13
	v_sub_f16_e32 v12, v12, v11
	v_sub_f16_e32 v13, v13, v14
	v_sub_f16_e32 v6, v11, v6
	v_sub_f16_e32 v15, v14, v15
	v_add_f16_e32 v21, v16, v4
	v_add_f16_e32 v22, v3, v2
	v_sub_f16_e32 v37, v16, v4
	v_sub_f16_e32 v38, v3, v2
	v_add_f16_e32 v7, v11, v7
	v_add_f16_e32 v11, v14, v18
	v_sub_f16_e32 v4, v4, v5
	v_sub_f16_e32 v2, v2, v1
	;; [unrolled: 1-line block ×4, first 2 shown]
	v_add_f16_e32 v5, v21, v5
	v_add_f16_e32 v1, v22, v1
	;; [unrolled: 1-line block ×4, first 2 shown]
	v_mul_f16_e32 v12, 0x3a52, v12
	v_mul_f16_e32 v13, 0x3a52, v13
	;; [unrolled: 1-line block ×8, first 2 shown]
	v_fmamk_f16 v7, v7, 0xbcab, v0
	v_fmamk_f16 v11, v11, 0xbcab, v14
	;; [unrolled: 1-line block ×4, first 2 shown]
	v_fma_f16 v17, v19, 0x39e0, -v17
	v_fma_f16 v18, v20, 0x39e0, -v18
	;; [unrolled: 1-line block ×4, first 2 shown]
	v_fmamk_f16 v19, v16, 0xb574, v21
	v_fmamk_f16 v20, v3, 0xb574, v22
	v_fma_f16 v4, v4, 0xbb00, -v21
	v_fma_f16 v2, v2, 0xbb00, -v22
	;; [unrolled: 1-line block ×4, first 2 shown]
	v_add_f16_e32 v6, v6, v7
	v_add_f16_e32 v15, v15, v11
	v_fmac_f16_e32 v19, 0xb70e, v5
	v_fmac_f16_e32 v20, 0xb70e, v1
	v_add_f16_e32 v17, v17, v7
	v_add_f16_e32 v18, v18, v11
	;; [unrolled: 1-line block ×4, first 2 shown]
	v_fmac_f16_e32 v4, 0xb70e, v5
	v_fmac_f16_e32 v3, 0xb70e, v1
	;; [unrolled: 1-line block ×4, first 2 shown]
	v_add_f16_e32 v1, v20, v6
	v_sub_f16_e32 v5, v15, v19
	v_add_f16_e32 v12, v3, v7
	v_sub_f16_e32 v13, v11, v16
	v_sub_f16_e32 v21, v17, v2
	v_add_f16_e32 v22, v4, v18
	v_add_f16_e32 v2, v2, v17
	v_sub_f16_e32 v4, v18, v4
	v_sub_f16_e32 v3, v7, v3
	v_add_f16_e32 v7, v16, v11
	v_sub_f16_e32 v6, v6, v20
	v_add_f16_e32 v11, v19, v15
	v_pack_b32_f16 v0, v0, v14
	v_pack_b32_f16 v1, v1, v5
	;; [unrolled: 1-line block ×7, first 2 shown]
	ds_store_2addr_b32 v23, v0, v1 offset1:14
	ds_store_2addr_b32 v23, v5, v12 offset0:28 offset1:42
	ds_store_2addr_b32 v23, v2, v3 offset0:56 offset1:70
	ds_store_b32 v23, v4 offset:336
	global_wb scope:SCOPE_SE
	s_wait_dscnt 0x0
	s_barrier_signal -1
	s_barrier_wait -1
	global_inv scope:SCOPE_SE
	ds_load_2addr_b32 v[1:2], v23 offset1:14
	s_wait_dscnt 0x0
	v_lshrrev_b32_e32 v0, 16, v1
	s_delay_alu instid0(VALU_DEP_1) | instskip(NEXT) | instid1(VALU_DEP_1)
	v_mul_f16_e32 v3, v36, v0
	v_fmac_f16_e32 v3, v35, v1
	v_mul_f16_e32 v1, v36, v1
	s_delay_alu instid0(VALU_DEP_2) | instskip(NEXT) | instid1(VALU_DEP_2)
	v_cvt_f32_f16_e32 v3, v3
	v_fma_f16 v0, v35, v0, -v1
	s_delay_alu instid0(VALU_DEP_2) | instskip(NEXT) | instid1(VALU_DEP_2)
	v_cvt_f64_f32_e32 v[3:4], v3
	v_cvt_f32_f16_e32 v0, v0
	s_delay_alu instid0(VALU_DEP_1) | instskip(SKIP_3) | instid1(VALU_DEP_1)
	v_cvt_f64_f32_e32 v[5:6], v0
	ds_load_2addr_b32 v[0:1], v23 offset0:28 offset1:49
	s_wait_dscnt 0x0
	v_lshrrev_b32_e32 v7, 16, v1
	v_mul_f16_e32 v11, v34, v7
	s_delay_alu instid0(VALU_DEP_1) | instskip(SKIP_3) | instid1(VALU_DEP_3)
	v_fmac_f16_e32 v11, v33, v1
	s_wait_alu 0xfffe
	v_mul_f64_e32 v[3:4], s[10:11], v[3:4]
	v_mul_f16_e32 v1, v34, v1
	v_cvt_f32_f16_e32 v11, v11
	v_mul_f64_e32 v[5:6], s[10:11], v[5:6]
	s_delay_alu instid0(VALU_DEP_3) | instskip(NEXT) | instid1(VALU_DEP_1)
	v_fma_f16 v1, v33, v7, -v1
	v_cvt_f32_f16_e32 v1, v1
	v_and_or_b32 v3, 0x1ff, v4, v3
	v_lshrrev_b32_e32 v12, 8, v4
	v_bfe_u32 v15, v4, 20, 11
	s_delay_alu instid0(VALU_DEP_3)
	v_cmp_ne_u32_e64 s0, 0, v3
	v_and_or_b32 v5, 0x1ff, v6, v5
	v_lshrrev_b32_e32 v14, 8, v6
	v_bfe_u32 v18, v6, 20, 11
	v_add_nc_u32_e32 v21, 0xfffffc10, v15
	s_wait_alu 0xf1ff
	v_cndmask_b32_e64 v3, 0, 1, s0
	v_cmp_ne_u32_e64 s0, 0, v5
	v_sub_nc_u32_e32 v7, 0x3f1, v18
	s_delay_alu instid0(VALU_DEP_3)
	v_and_or_b32 v3, 0xffe, v12, v3
	v_sub_nc_u32_e32 v12, 0x3f1, v15
	s_wait_alu 0xf1ff
	v_cndmask_b32_e64 v5, 0, 1, s0
	v_med3_i32 v7, v7, 0, 13
	v_or_b32_e32 v16, 0x1000, v3
	v_med3_i32 v13, v12, 0, 13
	v_cvt_f64_f32_e32 v[11:12], v11
	v_and_or_b32 v5, 0xffe, v14, v5
	s_delay_alu instid0(VALU_DEP_3) | instskip(NEXT) | instid1(VALU_DEP_2)
	v_lshrrev_b32_e32 v17, v13, v16
	v_or_b32_e32 v20, 0x1000, v5
	s_delay_alu instid0(VALU_DEP_2) | instskip(SKIP_1) | instid1(VALU_DEP_3)
	v_lshlrev_b32_e32 v19, v13, v17
	v_mad_co_u64_u32 v[13:14], null, s6, v10, 0
	v_lshrrev_b32_e32 v22, v7, v20
	s_delay_alu instid0(VALU_DEP_3) | instskip(SKIP_1) | instid1(VALU_DEP_3)
	v_cmp_ne_u32_e64 s0, v19, v16
	v_cvt_f64_f32_e32 v[15:16], v1
	v_lshlrev_b32_e32 v7, v7, v22
	v_mov_b32_e32 v1, v14
	s_wait_alu 0xf1ff
	v_cndmask_b32_e64 v19, 0, 1, s0
	v_cmp_gt_i32_e64 s0, 1, v21
	s_delay_alu instid0(VALU_DEP_2) | instskip(SKIP_2) | instid1(VALU_DEP_1)
	v_or_b32_e32 v17, v17, v19
	v_lshl_or_b32 v19, v21, 12, v3
	s_wait_alu 0xf1ff
	v_cndmask_b32_e64 v14, v19, v17, s0
	v_cmp_ne_u32_e64 s0, v7, v20
	v_add_nc_u32_e32 v19, 0xfffffc10, v18
	s_delay_alu instid0(VALU_DEP_3) | instskip(SKIP_1) | instid1(VALU_DEP_3)
	v_and_b32_e32 v20, 7, v14
	s_wait_alu 0xf1ff
	v_cndmask_b32_e64 v7, 0, 1, s0
	v_mad_co_u64_u32 v[17:18], null, s7, v10, v[1:2]
	v_lshrrev_b32_e32 v10, 2, v14
	v_cmp_lt_i32_e64 s0, 5, v20
	v_cmp_eq_u32_e64 s1, 3, v20
	v_or_b32_e32 v1, v22, v7
	v_lshl_or_b32 v7, v19, 12, v5
	v_cmp_gt_i32_e64 s2, 1, v19
	v_mul_f64_e32 v[11:12], s[10:11], v[11:12]
	s_or_b32 s0, s1, s0
	v_mov_b32_e32 v14, v17
	v_lshrrev_b32_e32 v17, 16, v2
	v_cndmask_b32_e64 v1, v7, v1, s2
	s_wait_alu 0xfffe
	v_add_co_ci_u32_e64 v7, s0, 0, v10, s0
	v_cmp_ne_u32_e64 s0, 0, v3
	v_mul_f64_e32 v[15:16], s[10:11], v[15:16]
	v_and_b32_e32 v10, 7, v1
	v_lshrrev_b32_e32 v1, 2, v1
	v_lshrrev_b32_e32 v18, 16, v4
	s_wait_alu 0xf1ff
	v_cndmask_b32_e64 v3, 0, 1, s0
	v_cmp_gt_i32_e64 s0, 31, v21
	v_cmp_eq_u32_e64 s1, 3, v10
	s_delay_alu instid0(VALU_DEP_3) | instskip(SKIP_1) | instid1(VALU_DEP_3)
	v_lshl_or_b32 v3, v3, 9, 0x7c00
	s_wait_alu 0xf1ff
	v_cndmask_b32_e64 v7, 0x7c00, v7, s0
	v_cmp_lt_i32_e64 s0, 5, v10
	v_mul_f16_e32 v10, v32, v17
	s_delay_alu instid0(VALU_DEP_2) | instskip(NEXT) | instid1(VALU_DEP_1)
	s_or_b32 s0, s1, s0
	v_fmac_f16_e32 v10, v31, v2
	s_wait_alu 0xfffe
	v_add_co_ci_u32_e64 v1, s0, 0, v1, s0
	v_cmp_eq_u32_e64 s0, 0x40f, v21
	s_wait_alu 0xf1ff
	s_delay_alu instid0(VALU_DEP_1) | instskip(SKIP_4) | instid1(VALU_DEP_3)
	v_cndmask_b32_e64 v7, v7, v3, s0
	v_cmp_gt_i32_e64 s0, 31, v19
	v_mad_co_u64_u32 v[3:4], null, s4, v30, 0
	v_lshrrev_b32_e32 v22, 8, v12
	s_wait_alu 0xf1ff
	v_cndmask_b32_e64 v20, 0x7c00, v1, s0
	v_cmp_ne_u32_e64 s0, 0, v5
	v_and_or_b32 v5, 0x1ff, v12, v11
	v_bfe_u32 v33, v12, 20, 11
	v_lshrrev_b32_e32 v12, 16, v12
	s_wait_alu 0xf1ff
	v_cndmask_b32_e64 v1, 0, 1, s0
	v_cmp_ne_u32_e64 s0, 0, v5
	v_and_or_b32 v15, 0x1ff, v16, v15
	s_delay_alu instid0(VALU_DEP_3) | instskip(SKIP_4) | instid1(VALU_DEP_3)
	v_lshl_or_b32 v21, v1, 9, 0x7c00
	v_cvt_f32_f16_e32 v1, v10
	s_wait_alu 0xf1ff
	v_cndmask_b32_e64 v5, 0, 1, s0
	v_cmp_eq_u32_e64 s0, 0x40f, v19
	v_cvt_f64_f32_e32 v[10:11], v1
	v_mov_b32_e32 v1, v4
	s_wait_alu 0xf1ff
	s_delay_alu instid0(VALU_DEP_3)
	v_cndmask_b32_e64 v19, v20, v21, s0
	v_and_or_b32 v20, 0xffe, v22, v5
	v_sub_nc_u32_e32 v21, 0x3f1, v33
	v_cmp_ne_u32_e64 s0, 0, v15
	v_mad_co_u64_u32 v[4:5], null, s5, v30, v[1:2]
	v_lshrrev_b32_e32 v1, 16, v6
	v_and_or_b32 v5, 0x8000, v18, v7
	v_mul_f16_e32 v2, v32, v2
	v_or_b32_e32 v7, 0x1000, v20
	v_med3_i32 v6, v21, 0, 13
	v_and_or_b32 v1, 0x8000, v1, v19
	v_and_b32_e32 v5, 0xffff, v5
	v_fma_f16 v17, v31, v17, -v2
	v_lshrrev_b32_e32 v15, 8, v16
	v_lshrrev_b32_e32 v18, v6, v7
	v_add_nc_u32_e32 v21, 0xfffffc10, v33
	v_lshl_or_b32 v19, v1, 16, v5
	v_cvt_f32_f16_e32 v5, v17
	v_lshlrev_b64_e32 v[1:2], 2, v[13:14]
	v_lshlrev_b32_e32 v13, v6, v18
	s_wait_alu 0xf1ff
	v_cndmask_b32_e64 v14, 0, 1, s0
	v_bfe_u32 v17, v16, 20, 11
	v_cvt_f64_f32_e32 v[5:6], v5
	v_lshlrev_b64_e32 v[3:4], 2, v[3:4]
	v_cmp_ne_u32_e64 s0, v13, v7
	v_and_or_b32 v15, 0xffe, v15, v14
	v_sub_nc_u32_e32 v13, 0x3f1, v17
	s_wait_alu 0xf1ff
	s_delay_alu instid0(VALU_DEP_3) | instskip(NEXT) | instid1(VALU_DEP_3)
	v_cndmask_b32_e64 v7, 0, 1, s0
	v_or_b32_e32 v22, 0x1000, v15
	s_delay_alu instid0(VALU_DEP_3)
	v_med3_i32 v30, v13, 0, 13
	v_cmp_gt_i32_e64 s0, 1, v21
	ds_load_2addr_b32 v[13:14], v23 offset0:63 offset1:77
	v_or_b32_e32 v7, v18, v7
	v_mul_f64_e32 v[10:11], s[10:11], v[10:11]
	v_lshl_or_b32 v18, v21, 12, v20
	s_wait_alu 0xf1ff
	s_delay_alu instid0(VALU_DEP_1) | instskip(SKIP_4) | instid1(VALU_DEP_3)
	v_cndmask_b32_e64 v7, v18, v7, s0
	v_lshrrev_b32_e32 v18, v30, v22
	v_add_co_u32 v1, s0, s8, v1
	s_wait_alu 0xf1ff
	v_add_co_ci_u32_e64 v2, s0, s9, v2, s0
	v_lshlrev_b32_e32 v30, v30, v18
	v_and_b32_e32 v31, 7, v7
	v_add_co_u32 v1, s0, v1, v3
	s_wait_alu 0xf1ff
	v_add_co_ci_u32_e64 v2, s0, v2, v4, s0
	v_cmp_ne_u32_e64 s2, v30, v22
	v_cmp_lt_i32_e64 s0, 5, v31
	v_cmp_eq_u32_e64 s1, 3, v31
	v_lshrrev_b32_e32 v3, 2, v7
	v_add_nc_u32_e32 v7, 0xfffffc10, v17
	s_wait_alu 0xf1ff
	v_cndmask_b32_e64 v4, 0, 1, s2
	s_wait_dscnt 0x0
	v_lshrrev_b32_e32 v17, 16, v13
	s_or_b32 s0, s1, s0
	global_store_b32 v[1:2], v19, off
	s_wait_alu 0xfffe
	v_add_co_ci_u32_e64 v22, s0, 0, v3, s0
	v_or_b32_e32 v18, v18, v4
	v_mul_f64_e32 v[3:4], s[10:11], v[5:6]
	v_cmp_ne_u32_e64 s0, 0, v20
	v_lshl_or_b32 v5, v7, 12, v15
	v_mul_f16_e32 v30, v29, v17
	s_mul_u64 s[2:3], s[4:5], 49
	s_delay_alu instid0(VALU_DEP_3)
	v_cndmask_b32_e64 v6, 0, 1, s0
	v_cmp_gt_i32_e64 s0, 1, v7
	v_and_or_b32 v10, 0x1ff, v11, v10
	v_fmac_f16_e32 v30, v28, v13
	v_mul_f16_e32 v13, v29, v13
	v_lshl_or_b32 v6, v6, 9, 0x7c00
	s_wait_alu 0xf1ff
	v_cndmask_b32_e64 v18, v5, v18, s0
	v_cmp_gt_i32_e64 s0, 31, v21
	v_cmp_ne_u32_e64 s1, 0, v10
	v_cvt_f32_f16_e32 v20, v30
	v_bfe_u32 v30, v11, 20, 11
	v_fma_f16 v13, v28, v17, -v13
	s_wait_alu 0xf1ff
	v_cndmask_b32_e64 v5, 0x7c00, v22, s0
	v_and_b32_e32 v22, 7, v18
	v_cmp_eq_u32_e64 s0, 0x40f, v21
	v_cndmask_b32_e64 v10, 0, 1, s1
	v_lshrrev_b32_e32 v18, 2, v18
	v_cvt_f32_f16_e32 v13, v13
	v_cmp_eq_u32_e64 s1, 3, v22
	s_wait_alu 0xf1ff
	v_cndmask_b32_e64 v21, v5, v6, s0
	v_cmp_lt_i32_e64 s0, 5, v22
	v_cvt_f64_f32_e32 v[5:6], v20
	v_lshrrev_b32_e32 v20, 8, v11
	s_wait_alu 0xfffe
	s_lshl_b64 s[8:9], s[2:3], 2
	v_and_or_b32 v21, 0x8000, v12, v21
	s_or_b32 s0, s1, s0
	v_lshrrev_b32_e32 v11, 16, v11
	s_wait_alu 0xfffe
	v_add_co_ci_u32_e64 v18, s0, 0, v18, s0
	v_cmp_ne_u32_e64 s0, 0, v15
	v_and_or_b32 v10, 0xffe, v20, v10
	v_sub_nc_u32_e32 v20, 0x3f1, v30
	v_and_or_b32 v3, 0x1ff, v4, v3
	v_and_b32_e32 v21, 0xffff, v21
	s_wait_alu 0xf1ff
	v_cndmask_b32_e64 v15, 0, 1, s0
	v_cmp_gt_i32_e64 s0, 31, v7
	v_or_b32_e32 v22, 0x1000, v10
	v_med3_i32 v20, v20, 0, 13
	s_delay_alu instid0(VALU_DEP_4)
	v_lshl_or_b32 v15, v15, 9, 0x7c00
	s_wait_alu 0xf1ff
	v_cndmask_b32_e64 v18, 0x7c00, v18, s0
	v_cmp_eq_u32_e64 s0, 0x40f, v7
	v_lshrrev_b32_e32 v12, v20, v22
	s_wait_alu 0xf1ff
	s_delay_alu instid0(VALU_DEP_2)
	v_cndmask_b32_e64 v7, v18, v15, s0
	v_cmp_ne_u32_e64 s0, 0, v3
	v_lshrrev_b32_e32 v15, 16, v16
	v_lshlrev_b32_e32 v16, v20, v12
	v_lshrrev_b32_e32 v18, 8, v4
	v_bfe_u32 v20, v4, 20, 11
	s_wait_alu 0xf1ff
	v_cndmask_b32_e64 v3, 0, 1, s0
	v_and_or_b32 v7, 0x8000, v15, v7
	v_cmp_ne_u32_e64 s0, v16, v22
	v_add_nc_u32_e32 v22, 0xfffffc10, v30
	s_delay_alu instid0(VALU_DEP_4)
	v_and_or_b32 v3, 0xffe, v18, v3
	v_sub_nc_u32_e32 v18, 0x3f1, v20
	s_wait_alu 0xf1ff
	v_cndmask_b32_e64 v16, 0, 1, s0
	v_mul_f64_e32 v[5:6], s[10:11], v[5:6]
	v_cmp_gt_i32_e64 s0, 1, v22
	v_or_b32_e32 v17, 0x1000, v3
	v_med3_i32 v18, v18, 0, 13
	v_or_b32_e32 v12, v12, v16
	v_lshl_or_b32 v16, v22, 12, v10
	v_lshl_or_b32 v7, v7, 16, v21
	s_delay_alu instid0(VALU_DEP_4) | instskip(SKIP_1) | instid1(VALU_DEP_3)
	v_lshrrev_b32_e32 v15, v18, v17
	s_wait_alu 0xf1ff
	v_cndmask_b32_e64 v16, v16, v12, s0
	v_cvt_f64_f32_e32 v[12:13], v13
	s_delay_alu instid0(VALU_DEP_3) | instskip(NEXT) | instid1(VALU_DEP_3)
	v_lshlrev_b32_e32 v18, v18, v15
	v_and_b32_e32 v19, 7, v16
	v_lshrrev_b32_e32 v16, 2, v16
	s_delay_alu instid0(VALU_DEP_3) | instskip(SKIP_1) | instid1(VALU_DEP_4)
	v_cmp_ne_u32_e64 s0, v18, v17
	v_add_nc_u32_e32 v18, 0xfffffc10, v20
	v_cmp_eq_u32_e64 s1, 3, v19
	s_wait_alu 0xf1ff
	s_delay_alu instid0(VALU_DEP_3) | instskip(SKIP_2) | instid1(VALU_DEP_3)
	v_cndmask_b32_e64 v17, 0, 1, s0
	v_cmp_lt_i32_e64 s0, 5, v19
	v_lshrrev_b32_e32 v19, 16, v0
	v_or_b32_e32 v15, v15, v17
	s_delay_alu instid0(VALU_DEP_3)
	s_or_b32 s0, s1, s0
	v_lshl_or_b32 v17, v18, 12, v3
	s_wait_alu 0xfffe
	v_add_co_ci_u32_e64 v16, s0, 0, v16, s0
	v_cmp_gt_i32_e64 s0, 1, v18
	s_wait_alu 0xf1ff
	s_delay_alu instid0(VALU_DEP_1)
	v_cndmask_b32_e64 v17, v17, v15, s0
	v_mul_f16_e32 v15, v27, v19
	v_cmp_gt_i32_e64 s0, 31, v22
	v_and_or_b32 v5, 0x1ff, v6, v5
	v_lshrrev_b32_e32 v21, 8, v6
	v_bfe_u32 v28, v6, 20, 11
	v_fmac_f16_e32 v15, v26, v0
	s_wait_alu 0xf1ff
	v_cndmask_b32_e64 v20, 0x7c00, v16, s0
	v_and_b32_e32 v16, 7, v17
	v_cmp_ne_u32_e64 s0, 0, v10
	v_lshrrev_b32_e32 v17, 2, v17
	v_cvt_f32_f16_e32 v15, v15
	v_cmp_ne_u32_e64 s2, 0, v5
	v_cmp_eq_u32_e64 s1, 3, v16
	s_wait_alu 0xf1ff
	v_cndmask_b32_e64 v10, 0, 1, s0
	v_cmp_lt_i32_e64 s0, 5, v16
	v_cvt_f64_f32_e32 v[15:16], v15
	v_mul_f64_e32 v[12:13], s[10:11], v[12:13]
	v_cndmask_b32_e64 v5, 0, 1, s2
	v_lshl_or_b32 v10, v10, 9, 0x7c00
	s_or_b32 s0, s1, s0
	s_wait_alu 0xfffe
	v_add_co_ci_u32_e64 v17, s0, 0, v17, s0
	v_cmp_ne_u32_e64 s0, 0, v3
	v_and_or_b32 v5, 0xffe, v21, v5
	v_sub_nc_u32_e32 v21, 0x3f1, v28
	s_wait_alu 0xf1ff
	s_delay_alu instid0(VALU_DEP_3) | instskip(SKIP_3) | instid1(VALU_DEP_4)
	v_cndmask_b32_e64 v3, 0, 1, s0
	v_cmp_gt_i32_e64 s0, 31, v18
	v_or_b32_e32 v29, 0x1000, v5
	v_med3_i32 v21, v21, 0, 13
	v_lshl_or_b32 v3, v3, 9, 0x7c00
	s_wait_alu 0xf1ff
	v_cndmask_b32_e64 v17, 0x7c00, v17, s0
	v_cmp_eq_u32_e64 s0, 0x40f, v22
	s_wait_alu 0xf1ff
	s_delay_alu instid0(VALU_DEP_1) | instskip(SKIP_3) | instid1(VALU_DEP_3)
	v_cndmask_b32_e64 v10, v20, v10, s0
	v_lshrrev_b32_e32 v20, v21, v29
	v_cmp_eq_u32_e64 s0, 0x40f, v18
	v_lshrrev_b32_e32 v18, 16, v4
	v_lshlrev_b32_e32 v21, v21, v20
	s_wait_alu 0xf1ff
	s_delay_alu instid0(VALU_DEP_3)
	v_cndmask_b32_e64 v17, v17, v3, s0
	v_add_co_u32 v3, s0, v1, s8
	s_wait_alu 0xf1ff
	v_add_co_ci_u32_e64 v4, s0, s9, v2, s0
	v_cmp_ne_u32_e64 s0, v21, v29
	v_add_nc_u32_e32 v21, 0xfffffc10, v28
	v_and_or_b32 v2, 0x8000, v11, v10
	v_mul_f16_e32 v11, v27, v0
	v_and_or_b32 v12, 0x1ff, v13, v12
	s_wait_alu 0xf1ff
	v_cndmask_b32_e64 v1, 0, 1, s0
	s_movk_i32 s0, 0xffdd
	s_mov_b32 s1, -1
	v_fma_f16 v11, v26, v19, -v11
	s_wait_alu 0xfffe
	s_mul_u64 s[2:3], s[4:5], s[0:1]
	v_or_b32_e32 v10, v20, v1
	v_mul_f64_e32 v[0:1], s[10:11], v[15:16]
	v_lshl_or_b32 v15, v21, 12, v5
	v_cmp_gt_i32_e64 s0, 1, v21
	v_and_or_b32 v17, 0x8000, v18, v17
	v_lshrrev_b32_e32 v16, 8, v13
	v_bfe_u32 v18, v13, 20, 11
	v_and_b32_e32 v2, 0xffff, v2
	s_wait_alu 0xf1ff
	v_cndmask_b32_e64 v15, v15, v10, s0
	v_cmp_ne_u32_e64 s0, 0, v12
	v_cvt_f32_f16_e32 v10, v11
	v_lshrrev_b32_e32 v20, 16, v14
	v_lshl_or_b32 v2, v17, 16, v2
	v_and_b32_e32 v19, 7, v15
	s_wait_alu 0xf1ff
	v_cndmask_b32_e64 v12, 0, 1, s0
	v_cvt_f64_f32_e32 v[10:11], v10
	v_lshrrev_b32_e32 v15, 2, v15
	v_mul_f16_e32 v22, v25, v20
	v_cmp_lt_i32_e64 s0, 5, v19
	v_and_or_b32 v12, 0xffe, v16, v12
	v_sub_nc_u32_e32 v16, 0x3f1, v18
	v_cmp_eq_u32_e64 s1, 3, v19
	v_fmac_f16_e32 v22, v24, v14
	v_mul_f16_e32 v14, v25, v14
	v_or_b32_e32 v17, 0x1000, v12
	v_med3_i32 v16, v16, 0, 13
	s_or_b32 s0, s1, s0
	s_wait_alu 0xfffe
	s_lshl_b64 s[12:13], s[2:3], 2
	v_add_co_ci_u32_e64 v15, s0, 0, v15, s0
	v_lshrrev_b32_e32 v19, v16, v17
	v_cmp_ne_u32_e64 s0, 0, v5
	v_fma_f16 v14, v24, v20, -v14
	s_delay_alu instid0(VALU_DEP_3) | instskip(SKIP_1) | instid1(VALU_DEP_3)
	v_lshlrev_b32_e32 v26, v16, v19
	s_wait_alu 0xf1ff
	v_cndmask_b32_e64 v5, 0, 1, s0
	v_cvt_f32_f16_e32 v16, v22
	v_cmp_gt_i32_e64 s0, 31, v21
	v_and_or_b32 v0, 0x1ff, v1, v0
	v_cvt_f32_f16_e32 v14, v14
	v_lshl_or_b32 v5, v5, 9, 0x7c00
	s_wait_alu 0xf1ff
	v_cndmask_b32_e64 v22, 0x7c00, v15, s0
	v_cvt_f64_f32_e32 v[15:16], v16
	v_cmp_ne_u32_e64 s0, v26, v17
	v_add_nc_u32_e32 v26, 0xfffffc10, v18
	v_lshrrev_b32_e32 v18, 8, v1
	s_wait_alu 0xf1ff
	s_delay_alu instid0(VALU_DEP_3) | instskip(SKIP_3) | instid1(VALU_DEP_4)
	v_cndmask_b32_e64 v17, 0, 1, s0
	v_cmp_ne_u32_e64 s0, 0, v0
	v_lshl_or_b32 v20, v26, 12, v12
	v_mul_f64_e32 v[10:11], s[10:11], v[10:11]
	v_or_b32_e32 v17, v19, v17
	s_wait_alu 0xf1ff
	v_cndmask_b32_e64 v0, 0, 1, s0
	v_bfe_u32 v19, v1, 20, 11
	v_cmp_gt_i32_e64 s0, 1, v26
	v_lshrrev_b32_e32 v1, 16, v1
	s_delay_alu instid0(VALU_DEP_4) | instskip(NEXT) | instid1(VALU_DEP_4)
	v_and_or_b32 v0, 0xffe, v18, v0
	v_sub_nc_u32_e32 v18, 0x3f1, v19
	s_wait_alu 0xf1ff
	v_cndmask_b32_e64 v20, v20, v17, s0
	v_cmp_eq_u32_e64 s0, 0x40f, v21
	v_lshrrev_b32_e32 v21, 16, v6
	v_or_b32_e32 v24, 0x1000, v0
	v_med3_i32 v25, v18, 0, 13
	v_cvt_f64_f32_e32 v[17:18], v14
	s_wait_alu 0xf1ff
	v_cndmask_b32_e64 v14, v22, v5, s0
	v_and_b32_e32 v22, 7, v20
	s_wait_alu 0xfffe
	v_add_co_u32 v5, s0, v3, s12
	v_lshrrev_b32_e32 v27, v25, v24
	s_wait_alu 0xf1ff
	v_add_co_ci_u32_e64 v6, s0, s13, v4, s0
	v_cmp_lt_i32_e64 s0, 5, v22
	v_cmp_eq_u32_e64 s1, 3, v22
	v_lshrrev_b32_e32 v20, 2, v20
	v_lshlrev_b32_e32 v25, v25, v27
	v_and_or_b32 v21, 0x8000, v21, v14
	v_add_nc_u32_e32 v19, 0xfffffc10, v19
	s_or_b32 s0, s1, s0
	v_mul_f64_e32 v[14:15], s[10:11], v[15:16]
	s_wait_alu 0xfffe
	v_add_co_ci_u32_e64 v16, s0, 0, v20, s0
	v_cmp_ne_u32_e64 s2, v25, v24
	v_cmp_ne_u32_e64 s0, 0, v12
	s_wait_alu 0xf1ff
	s_delay_alu instid0(VALU_DEP_2) | instskip(NEXT) | instid1(VALU_DEP_2)
	v_cndmask_b32_e64 v22, 0, 1, s2
	v_cndmask_b32_e64 v12, 0, 1, s0
	v_cmp_gt_i32_e64 s0, 31, v26
	v_and_or_b32 v10, 0x1ff, v11, v10
	v_lshrrev_b32_e32 v25, 8, v11
	v_or_b32_e32 v20, v27, v22
	v_lshl_or_b32 v22, v19, 12, v0
	s_wait_alu 0xf1ff
	v_cndmask_b32_e64 v16, 0x7c00, v16, s0
	v_cmp_gt_i32_e64 s0, 1, v19
	v_lshl_or_b32 v12, v12, 9, 0x7c00
	s_wait_alu 0xf1ff
	s_delay_alu instid0(VALU_DEP_2) | instskip(SKIP_2) | instid1(VALU_DEP_3)
	v_cndmask_b32_e64 v20, v22, v20, s0
	v_cmp_eq_u32_e64 s0, 0x40f, v26
	v_lshrrev_b32_e32 v22, 16, v13
	v_and_b32_e32 v24, 7, v20
	s_wait_alu 0xf1ff
	s_delay_alu instid0(VALU_DEP_3)
	v_cndmask_b32_e64 v16, v16, v12, s0
	v_cmp_ne_u32_e64 s0, 0, v10
	v_mul_f64_e32 v[12:13], s[10:11], v[17:18]
	v_and_b32_e32 v18, 0xffff, v21
	v_bfe_u32 v17, v11, 20, 11
	v_and_or_b32 v16, 0x8000, v22, v16
	s_wait_alu 0xf1ff
	v_cndmask_b32_e64 v10, 0, 1, s0
	v_cmp_lt_i32_e64 s0, 5, v24
	v_cmp_eq_u32_e64 s1, 3, v24
	v_sub_nc_u32_e32 v21, 0x3f1, v17
	v_lshl_or_b32 v16, v16, 16, v18
	v_lshrrev_b32_e32 v18, 2, v20
	v_and_or_b32 v10, 0xffe, v25, v10
	s_or_b32 s0, s1, s0
	v_med3_i32 v21, v21, 0, 13
	v_and_or_b32 v14, 0x1ff, v15, v14
	s_wait_alu 0xfffe
	v_add_co_ci_u32_e64 v18, s0, 0, v18, s0
	v_or_b32_e32 v20, 0x1000, v10
	v_cmp_ne_u32_e64 s0, 0, v0
	v_lshrrev_b32_e32 v24, 8, v15
	v_bfe_u32 v25, v15, 20, 11
	v_add_nc_u32_e32 v17, 0xfffffc10, v17
	v_lshrrev_b32_e32 v22, v21, v20
	s_wait_alu 0xf1ff
	v_cndmask_b32_e64 v0, 0, 1, s0
	v_cmp_gt_i32_e64 s0, 31, v19
	v_lshrrev_b32_e32 v11, 16, v11
	v_lshrrev_b32_e32 v15, 16, v15
	v_lshlrev_b32_e32 v21, v21, v22
	v_lshl_or_b32 v0, v0, 9, 0x7c00
	s_wait_alu 0xf1ff
	v_cndmask_b32_e64 v18, 0x7c00, v18, s0
	v_cmp_ne_u32_e64 s0, 0, v14
	s_wait_alu 0xf1ff
	s_delay_alu instid0(VALU_DEP_1) | instskip(SKIP_3) | instid1(VALU_DEP_4)
	v_cndmask_b32_e64 v14, 0, 1, s0
	v_cmp_ne_u32_e64 s0, v21, v20
	v_sub_nc_u32_e32 v21, 0x3f1, v25
	v_and_or_b32 v12, 0x1ff, v13, v12
	v_and_or_b32 v14, 0xffe, v24, v14
	s_wait_alu 0xf1ff
	v_cndmask_b32_e64 v20, 0, 1, s0
	v_cmp_eq_u32_e64 s0, 0x40f, v19
	v_lshl_or_b32 v19, v17, 12, v10
	v_med3_i32 v21, v21, 0, 13
	v_bfe_u32 v24, v13, 20, 11
	s_wait_alu 0xf1ff
	v_cndmask_b32_e64 v0, v18, v0, s0
	v_or_b32_e32 v18, v22, v20
	v_or_b32_e32 v20, 0x1000, v14
	v_cmp_gt_i32_e64 s0, 1, v17
	v_lshrrev_b32_e32 v22, 8, v13
	v_and_or_b32 v0, 0x8000, v1, v0
	s_wait_alu 0xf1ff
	s_delay_alu instid0(VALU_DEP_3) | instskip(SKIP_3) | instid1(VALU_DEP_4)
	v_cndmask_b32_e64 v18, v19, v18, s0
	v_lshrrev_b32_e32 v19, v21, v20
	v_cmp_ne_u32_e64 s0, 0, v12
	v_and_b32_e32 v0, 0xffff, v0
	v_and_b32_e32 v26, 7, v18
	s_delay_alu instid0(VALU_DEP_4)
	v_lshlrev_b32_e32 v21, v21, v19
	s_wait_alu 0xf1ff
	v_cndmask_b32_e64 v12, 0, 1, s0
	v_lshrrev_b32_e32 v18, 2, v18
	v_cmp_lt_i32_e64 s0, 5, v26
	v_cmp_ne_u32_e64 s1, v21, v20
	s_delay_alu instid0(VALU_DEP_4)
	v_and_or_b32 v1, 0xffe, v22, v12
	v_sub_nc_u32_e32 v12, 0x3f1, v24
	v_add_nc_u32_e32 v22, 0xfffffc10, v25
	s_wait_alu 0xf1ff
	v_cndmask_b32_e64 v20, 0, 1, s1
	v_cmp_eq_u32_e64 s1, 3, v26
	v_or_b32_e32 v21, 0x1000, v1
	v_med3_i32 v12, v12, 0, 13
	v_lshl_or_b32 v25, v22, 12, v14
	v_or_b32_e32 v19, v19, v20
	s_or_b32 s0, s1, s0
	s_wait_alu 0xfffe
	v_add_co_ci_u32_e64 v18, s0, 0, v18, s0
	v_lshrrev_b32_e32 v20, v12, v21
	v_cmp_gt_i32_e64 s0, 1, v22
	s_delay_alu instid0(VALU_DEP_2) | instskip(SKIP_1) | instid1(VALU_DEP_2)
	v_lshlrev_b32_e32 v12, v12, v20
	s_wait_alu 0xf1ff
	v_cndmask_b32_e64 v19, v25, v19, s0
	v_cmp_ne_u32_e64 s0, 0, v10
	s_wait_alu 0xf1ff
	s_delay_alu instid0(VALU_DEP_1) | instskip(SKIP_3) | instid1(VALU_DEP_4)
	v_cndmask_b32_e64 v10, 0, 1, s0
	v_cmp_ne_u32_e64 s0, v12, v21
	v_add_nc_u32_e32 v21, 0xfffffc10, v24
	v_and_b32_e32 v24, 7, v19
	v_lshl_or_b32 v10, v10, 9, 0x7c00
	s_wait_alu 0xf1ff
	v_cndmask_b32_e64 v12, 0, 1, s0
	v_cmp_gt_i32_e64 s0, 31, v17
	v_cmp_gt_i32_e64 s2, 1, v21
	v_cmp_eq_u32_e64 s1, 3, v24
	s_delay_alu instid0(VALU_DEP_4) | instskip(SKIP_4) | instid1(VALU_DEP_3)
	v_or_b32_e32 v12, v20, v12
	v_lshl_or_b32 v20, v21, 12, v1
	s_wait_alu 0xf1ff
	v_cndmask_b32_e64 v18, 0x7c00, v18, s0
	v_cmp_lt_i32_e64 s0, 5, v24
	v_cndmask_b32_e64 v12, v20, v12, s2
	v_cmp_eq_u32_e64 s2, 0x40f, v17
	v_lshrrev_b32_e32 v17, 2, v19
	s_delay_alu instid0(VALU_DEP_4) | instskip(NEXT) | instid1(VALU_DEP_2)
	s_or_b32 s0, s1, s0
	v_cndmask_b32_e64 v10, v18, v10, s2
	s_wait_alu 0xfffe
	s_delay_alu instid0(VALU_DEP_2) | instskip(SKIP_4) | instid1(VALU_DEP_4)
	v_add_co_ci_u32_e64 v17, s0, 0, v17, s0
	v_and_b32_e32 v18, 7, v12
	v_cmp_ne_u32_e64 s0, 0, v14
	v_lshrrev_b32_e32 v12, 2, v12
	v_cmp_gt_i32_e64 s2, 31, v22
	v_cmp_eq_u32_e64 s1, 3, v18
	s_wait_alu 0xf1ff
	v_cndmask_b32_e64 v14, 0, 1, s0
	v_cmp_lt_i32_e64 s0, 5, v18
	v_cndmask_b32_e64 v17, 0x7c00, v17, s2
	s_delay_alu instid0(VALU_DEP_3) | instskip(NEXT) | instid1(VALU_DEP_3)
	v_lshl_or_b32 v14, v14, 9, 0x7c00
	s_or_b32 s0, s1, s0
	s_wait_alu 0xfffe
	v_add_co_ci_u32_e64 v12, s0, 0, v12, s0
	v_cmp_ne_u32_e64 s0, 0, v1
	s_wait_alu 0xf1ff
	s_delay_alu instid0(VALU_DEP_1) | instskip(SKIP_1) | instid1(VALU_DEP_2)
	v_cndmask_b32_e64 v1, 0, 1, s0
	v_cmp_eq_u32_e64 s0, 0x40f, v22
	v_lshl_or_b32 v1, v1, 9, 0x7c00
	s_wait_alu 0xf1ff
	s_delay_alu instid0(VALU_DEP_2) | instskip(SKIP_2) | instid1(VALU_DEP_3)
	v_cndmask_b32_e64 v14, v17, v14, s0
	v_cmp_gt_i32_e64 s0, 31, v21
	v_and_or_b32 v17, 0x8000, v11, v10
	v_and_or_b32 v14, 0x8000, v15, v14
	s_wait_alu 0xf1ff
	s_delay_alu instid0(VALU_DEP_3) | instskip(SKIP_3) | instid1(VALU_DEP_2)
	v_cndmask_b32_e64 v12, 0x7c00, v12, s0
	v_cmp_eq_u32_e64 s0, 0x40f, v21
	v_lshl_or_b32 v15, v17, 16, v0
	s_wait_alu 0xf1ff
	v_cndmask_b32_e64 v1, v12, v1, s0
	v_lshrrev_b32_e32 v12, 16, v13
	v_add_co_u32 v10, s0, v5, s8
	s_wait_alu 0xf1ff
	v_add_co_ci_u32_e64 v11, s0, s9, v6, s0
	s_delay_alu instid0(VALU_DEP_3) | instskip(SKIP_4) | instid1(VALU_DEP_3)
	v_and_or_b32 v0, 0x8000, v12, v1
	v_and_b32_e32 v1, 0xffff, v14
	v_add_co_u32 v12, s0, v10, s12
	s_wait_alu 0xf1ff
	v_add_co_ci_u32_e64 v13, s0, s13, v11, s0
	v_lshl_or_b32 v14, v0, 16, v1
	s_delay_alu instid0(VALU_DEP_3) | instskip(SKIP_1) | instid1(VALU_DEP_3)
	v_add_co_u32 v0, s0, v12, s8
	s_wait_alu 0xf1ff
	v_add_co_ci_u32_e64 v1, s0, s9, v13, s0
	s_clause 0x3
	global_store_b32 v[3:4], v7, off
	global_store_b32 v[5:6], v2, off
	;; [unrolled: 1-line block ×5, first 2 shown]
	s_and_b32 exec_lo, exec_lo, vcc_lo
	s_cbranch_execz .LBB0_15
; %bb.14:
	s_clause 0x1
	global_load_b32 v4, v[8:9], off offset:168
	global_load_b32 v5, v[8:9], off offset:364
	ds_load_2addr_b32 v[2:3], v23 offset0:42 offset1:91
	s_wait_dscnt 0x0
	v_lshrrev_b32_e32 v6, 16, v2
	v_lshrrev_b32_e32 v9, 16, v3
	s_wait_loadcnt 0x1
	v_lshrrev_b32_e32 v7, 16, v4
	s_wait_loadcnt 0x0
	v_lshrrev_b32_e32 v10, 16, v5
	s_delay_alu instid0(VALU_DEP_2) | instskip(SKIP_1) | instid1(VALU_DEP_3)
	v_mul_f16_e32 v8, v6, v7
	v_mul_f16_e32 v7, v2, v7
	;; [unrolled: 1-line block ×3, first 2 shown]
	s_delay_alu instid0(VALU_DEP_3) | instskip(NEXT) | instid1(VALU_DEP_3)
	v_fmac_f16_e32 v8, v2, v4
	v_fma_f16 v2, v4, v6, -v7
	v_mul_f16_e32 v6, v3, v10
	s_delay_alu instid0(VALU_DEP_4) | instskip(NEXT) | instid1(VALU_DEP_4)
	v_fmac_f16_e32 v11, v3, v5
	v_cvt_f32_f16_e32 v4, v8
	s_delay_alu instid0(VALU_DEP_4) | instskip(NEXT) | instid1(VALU_DEP_4)
	v_cvt_f32_f16_e32 v7, v2
	v_fma_f16 v6, v5, v9, -v6
	s_delay_alu instid0(VALU_DEP_4) | instskip(NEXT) | instid1(VALU_DEP_4)
	v_cvt_f32_f16_e32 v8, v11
	v_cvt_f64_f32_e32 v[2:3], v4
	s_delay_alu instid0(VALU_DEP_4) | instskip(NEXT) | instid1(VALU_DEP_4)
	v_cvt_f64_f32_e32 v[4:5], v7
	v_cvt_f32_f16_e32 v9, v6
	s_delay_alu instid0(VALU_DEP_4) | instskip(NEXT) | instid1(VALU_DEP_2)
	v_cvt_f64_f32_e32 v[6:7], v8
	v_cvt_f64_f32_e32 v[8:9], v9
	v_mul_f64_e32 v[2:3], s[10:11], v[2:3]
	v_mul_f64_e32 v[4:5], s[10:11], v[4:5]
	s_delay_alu instid0(VALU_DEP_4) | instskip(NEXT) | instid1(VALU_DEP_4)
	v_mul_f64_e32 v[6:7], s[10:11], v[6:7]
	v_mul_f64_e32 v[8:9], s[10:11], v[8:9]
	s_delay_alu instid0(VALU_DEP_4) | instskip(NEXT) | instid1(VALU_DEP_4)
	v_and_or_b32 v2, 0x1ff, v3, v2
	v_and_or_b32 v4, 0x1ff, v5, v4
	v_lshrrev_b32_e32 v10, 8, v3
	v_and_or_b32 v6, 0x1ff, v7, v6
	v_bfe_u32 v11, v3, 20, 11
	v_cmp_ne_u32_e32 vcc_lo, 0, v2
	v_lshrrev_b32_e32 v12, 8, v5
	v_and_or_b32 v8, 0x1ff, v9, v8
	v_bfe_u32 v13, v5, 20, 11
	v_lshrrev_b32_e32 v14, 8, v7
	s_wait_alu 0xfffd
	v_cndmask_b32_e64 v2, 0, 1, vcc_lo
	v_cmp_ne_u32_e32 vcc_lo, 0, v4
	v_bfe_u32 v15, v7, 20, 11
	v_bfe_u32 v17, v9, 20, 11
	v_sub_nc_u32_e32 v18, 0x3f1, v11
	v_and_or_b32 v2, 0xffe, v10, v2
	s_wait_alu 0xfffd
	v_cndmask_b32_e64 v4, 0, 1, vcc_lo
	v_cmp_ne_u32_e32 vcc_lo, 0, v6
	v_add_nc_u32_e32 v11, 0xfffffc10, v11
	v_sub_nc_u32_e32 v19, 0x3f1, v13
	v_lshrrev_b32_e32 v16, 8, v9
	v_and_or_b32 v4, 0xffe, v12, v4
	s_wait_alu 0xfffd
	v_cndmask_b32_e64 v6, 0, 1, vcc_lo
	v_cmp_ne_u32_e32 vcc_lo, 0, v8
	v_add_nc_u32_e32 v13, 0xfffffc10, v13
	v_sub_nc_u32_e32 v20, 0x3f1, v15
	v_sub_nc_u32_e32 v21, 0x3f1, v17
	v_med3_i32 v10, v18, 0, 13
	s_wait_alu 0xfffd
	v_cndmask_b32_e64 v8, 0, 1, vcc_lo
	v_cmp_ne_u32_e32 vcc_lo, 0, v2
	v_med3_i32 v12, v19, 0, 13
	v_and_or_b32 v6, 0xffe, v14, v6
	v_or_b32_e32 v18, 0x1000, v2
	v_lshl_or_b32 v19, v11, 12, v2
	s_wait_alu 0xfffd
	v_cndmask_b32_e64 v2, 0, 1, vcc_lo
	v_cmp_ne_u32_e32 vcc_lo, 0, v4
	v_add_nc_u32_e32 v15, 0xfffffc10, v15
	v_med3_i32 v14, v20, 0, 13
	v_and_or_b32 v8, 0xffe, v16, v8
	v_med3_i32 v16, v21, 0, 13
	v_or_b32_e32 v20, 0x1000, v4
	v_lshl_or_b32 v21, v13, 12, v4
	s_wait_alu 0xfffd
	v_cndmask_b32_e64 v4, 0, 1, vcc_lo
	v_cmp_ne_u32_e32 vcc_lo, 0, v6
	v_lshrrev_b32_e32 v26, v10, v18
	v_add_nc_u32_e32 v17, 0xfffffc10, v17
	v_or_b32_e32 v22, 0x1000, v6
	v_lshl_or_b32 v23, v15, 12, v6
	s_wait_alu 0xfffd
	v_cndmask_b32_e64 v6, 0, 1, vcc_lo
	v_cmp_ne_u32_e32 vcc_lo, 0, v8
	v_lshrrev_b32_e32 v27, v12, v20
	v_lshlrev_b32_e32 v10, v10, v26
	v_or_b32_e32 v24, 0x1000, v8
	v_lshl_or_b32 v25, v17, 12, v8
	s_wait_alu 0xfffd
	v_cndmask_b32_e64 v8, 0, 1, vcc_lo
	v_lshrrev_b32_e32 v28, v14, v22
	v_lshlrev_b32_e32 v12, v12, v27
	v_cmp_ne_u32_e32 vcc_lo, v10, v18
	v_lshrrev_b32_e32 v29, v16, v24
	v_lshl_or_b32 v2, v2, 9, 0x7c00
	v_lshlrev_b32_e32 v14, v14, v28
	v_lshl_or_b32 v6, v6, 9, 0x7c00
	s_wait_alu 0xfffd
	v_cndmask_b32_e64 v10, 0, 1, vcc_lo
	v_cmp_ne_u32_e32 vcc_lo, v12, v20
	v_lshlrev_b32_e32 v16, v16, v29
	v_lshl_or_b32 v4, v4, 9, 0x7c00
	v_lshrrev_b32_e32 v3, 16, v3
	v_or_b32_e32 v10, v26, v10
	s_wait_alu 0xfffd
	v_cndmask_b32_e64 v12, 0, 1, vcc_lo
	v_cmp_ne_u32_e32 vcc_lo, v14, v22
	v_lshrrev_b32_e32 v7, 16, v7
	v_lshl_or_b32 v8, v8, 9, 0x7c00
	v_lshrrev_b32_e32 v5, 16, v5
	v_or_b32_e32 v12, v27, v12
	s_wait_alu 0xfffd
	v_cndmask_b32_e64 v14, 0, 1, vcc_lo
	v_cmp_ne_u32_e32 vcc_lo, v16, v24
	v_lshrrev_b32_e32 v9, 16, v9
	s_delay_alu instid0(VALU_DEP_3) | instskip(SKIP_3) | instid1(VALU_DEP_2)
	v_or_b32_e32 v14, v28, v14
	s_wait_alu 0xfffd
	v_cndmask_b32_e64 v16, 0, 1, vcc_lo
	v_cmp_gt_i32_e32 vcc_lo, 1, v11
	v_or_b32_e32 v16, v29, v16
	s_wait_alu 0xfffd
	v_cndmask_b32_e32 v10, v19, v10, vcc_lo
	v_cmp_gt_i32_e32 vcc_lo, 1, v13
	s_delay_alu instid0(VALU_DEP_2)
	v_and_b32_e32 v18, 7, v10
	s_wait_alu 0xfffd
	v_cndmask_b32_e32 v12, v21, v12, vcc_lo
	v_cmp_gt_i32_e32 vcc_lo, 1, v15
	v_lshrrev_b32_e32 v10, 2, v10
	v_cmp_eq_u32_e64 s0, 3, v18
	s_wait_alu 0xfffd
	v_cndmask_b32_e32 v14, v23, v14, vcc_lo
	v_cmp_gt_i32_e32 vcc_lo, 1, v17
	s_delay_alu instid0(VALU_DEP_2)
	v_and_b32_e32 v20, 7, v14
	s_wait_alu 0xfffd
	v_cndmask_b32_e32 v16, v25, v16, vcc_lo
	v_cmp_lt_i32_e32 vcc_lo, 5, v18
	v_lshrrev_b32_e32 v14, 2, v14
	v_cmp_lt_i32_e64 s3, 5, v20
	v_cmp_eq_u32_e64 s4, 3, v20
	s_or_b32 vcc_lo, s0, vcc_lo
	s_wait_alu 0xfffe
	v_add_co_ci_u32_e32 v10, vcc_lo, 0, v10, vcc_lo
	v_and_b32_e32 v19, 7, v12
	v_lshrrev_b32_e32 v12, 2, v12
	s_delay_alu instid0(VALU_DEP_2) | instskip(SKIP_1) | instid1(VALU_DEP_1)
	v_cmp_lt_i32_e64 s1, 5, v19
	v_cmp_eq_u32_e64 s2, 3, v19
	s_or_b32 vcc_lo, s2, s1
	s_wait_alu 0xfffe
	v_add_co_ci_u32_e32 v12, vcc_lo, 0, v12, vcc_lo
	s_or_b32 vcc_lo, s4, s3
	s_wait_alu 0xfffe
	v_add_co_ci_u32_e32 v14, vcc_lo, 0, v14, vcc_lo
	v_and_b32_e32 v21, 7, v16
	v_lshrrev_b32_e32 v16, 2, v16
	s_delay_alu instid0(VALU_DEP_2) | instskip(SKIP_1) | instid1(VALU_DEP_1)
	v_cmp_lt_i32_e64 s5, 5, v21
	v_cmp_eq_u32_e64 s6, 3, v21
	s_or_b32 vcc_lo, s6, s5
	s_wait_alu 0xfffe
	v_add_co_ci_u32_e32 v16, vcc_lo, 0, v16, vcc_lo
	v_cmp_gt_i32_e32 vcc_lo, 31, v11
	s_wait_alu 0xfffd
	v_cndmask_b32_e32 v10, 0x7c00, v10, vcc_lo
	v_cmp_gt_i32_e32 vcc_lo, 31, v13
	s_wait_alu 0xfffd
	v_cndmask_b32_e32 v12, 0x7c00, v12, vcc_lo
	;; [unrolled: 3-line block ×4, first 2 shown]
	v_cmp_eq_u32_e32 vcc_lo, 0x40f, v11
	s_wait_alu 0xfffd
	v_cndmask_b32_e32 v2, v10, v2, vcc_lo
	v_cmp_eq_u32_e32 vcc_lo, 0x40f, v15
	s_delay_alu instid0(VALU_DEP_2) | instskip(SKIP_3) | instid1(VALU_DEP_2)
	v_and_or_b32 v2, 0x8000, v3, v2
	s_wait_alu 0xfffd
	v_cndmask_b32_e32 v6, v14, v6, vcc_lo
	v_cmp_eq_u32_e32 vcc_lo, 0x40f, v13
	v_and_or_b32 v3, 0x8000, v7, v6
	s_wait_alu 0xfffd
	v_cndmask_b32_e32 v4, v12, v4, vcc_lo
	v_cmp_eq_u32_e32 vcc_lo, 0x40f, v17
	v_and_b32_e32 v6, 0xffff, v2
	v_and_b32_e32 v7, 0xffff, v3
	s_delay_alu instid0(VALU_DEP_4)
	v_and_or_b32 v4, 0x8000, v5, v4
	s_wait_alu 0xfffd
	v_cndmask_b32_e32 v8, v16, v8, vcc_lo
	v_add_co_u32 v0, vcc_lo, v0, s12
	s_wait_alu 0xfffd
	v_add_co_ci_u32_e32 v1, vcc_lo, s13, v1, vcc_lo
	s_delay_alu instid0(VALU_DEP_3) | instskip(NEXT) | instid1(VALU_DEP_3)
	v_and_or_b32 v5, 0x8000, v9, v8
	v_add_co_u32 v2, vcc_lo, v0, s8
	v_lshl_or_b32 v4, v4, 16, v6
	s_wait_alu 0xfffd
	v_add_co_ci_u32_e32 v3, vcc_lo, s9, v1, vcc_lo
	v_lshl_or_b32 v5, v5, 16, v7
	global_store_b32 v[0:1], v4, off
	global_store_b32 v[2:3], v5, off
.LBB0_15:
	s_nop 0
	s_sendmsg sendmsg(MSG_DEALLOC_VGPRS)
	s_endpgm
	.section	.rodata,"a",@progbits
	.p2align	6, 0x0
	.amdhsa_kernel bluestein_single_fwd_len98_dim1_half_op_CI_CI
		.amdhsa_group_segment_fixed_size 7056
		.amdhsa_private_segment_fixed_size 0
		.amdhsa_kernarg_size 104
		.amdhsa_user_sgpr_count 2
		.amdhsa_user_sgpr_dispatch_ptr 0
		.amdhsa_user_sgpr_queue_ptr 0
		.amdhsa_user_sgpr_kernarg_segment_ptr 1
		.amdhsa_user_sgpr_dispatch_id 0
		.amdhsa_user_sgpr_private_segment_size 0
		.amdhsa_wavefront_size32 1
		.amdhsa_uses_dynamic_stack 0
		.amdhsa_enable_private_segment 0
		.amdhsa_system_sgpr_workgroup_id_x 1
		.amdhsa_system_sgpr_workgroup_id_y 0
		.amdhsa_system_sgpr_workgroup_id_z 0
		.amdhsa_system_sgpr_workgroup_info 0
		.amdhsa_system_vgpr_workitem_id 0
		.amdhsa_next_free_vgpr 79
		.amdhsa_next_free_sgpr 18
		.amdhsa_reserve_vcc 1
		.amdhsa_float_round_mode_32 0
		.amdhsa_float_round_mode_16_64 0
		.amdhsa_float_denorm_mode_32 3
		.amdhsa_float_denorm_mode_16_64 3
		.amdhsa_fp16_overflow 0
		.amdhsa_workgroup_processor_mode 1
		.amdhsa_memory_ordered 1
		.amdhsa_forward_progress 0
		.amdhsa_round_robin_scheduling 0
		.amdhsa_exception_fp_ieee_invalid_op 0
		.amdhsa_exception_fp_denorm_src 0
		.amdhsa_exception_fp_ieee_div_zero 0
		.amdhsa_exception_fp_ieee_overflow 0
		.amdhsa_exception_fp_ieee_underflow 0
		.amdhsa_exception_fp_ieee_inexact 0
		.amdhsa_exception_int_div_zero 0
	.end_amdhsa_kernel
	.text
.Lfunc_end0:
	.size	bluestein_single_fwd_len98_dim1_half_op_CI_CI, .Lfunc_end0-bluestein_single_fwd_len98_dim1_half_op_CI_CI
                                        ; -- End function
	.section	.AMDGPU.csdata,"",@progbits
; Kernel info:
; codeLenInByte = 11328
; NumSgprs: 20
; NumVgprs: 79
; ScratchSize: 0
; MemoryBound: 0
; FloatMode: 240
; IeeeMode: 1
; LDSByteSize: 7056 bytes/workgroup (compile time only)
; SGPRBlocks: 2
; VGPRBlocks: 9
; NumSGPRsForWavesPerEU: 20
; NumVGPRsForWavesPerEU: 79
; Occupancy: 16
; WaveLimiterHint : 1
; COMPUTE_PGM_RSRC2:SCRATCH_EN: 0
; COMPUTE_PGM_RSRC2:USER_SGPR: 2
; COMPUTE_PGM_RSRC2:TRAP_HANDLER: 0
; COMPUTE_PGM_RSRC2:TGID_X_EN: 1
; COMPUTE_PGM_RSRC2:TGID_Y_EN: 0
; COMPUTE_PGM_RSRC2:TGID_Z_EN: 0
; COMPUTE_PGM_RSRC2:TIDIG_COMP_CNT: 0
	.text
	.p2alignl 7, 3214868480
	.fill 96, 4, 3214868480
	.type	__hip_cuid_b8340081e3a43d30,@object ; @__hip_cuid_b8340081e3a43d30
	.section	.bss,"aw",@nobits
	.globl	__hip_cuid_b8340081e3a43d30
__hip_cuid_b8340081e3a43d30:
	.byte	0                               ; 0x0
	.size	__hip_cuid_b8340081e3a43d30, 1

	.ident	"AMD clang version 19.0.0git (https://github.com/RadeonOpenCompute/llvm-project roc-6.4.0 25133 c7fe45cf4b819c5991fe208aaa96edf142730f1d)"
	.section	".note.GNU-stack","",@progbits
	.addrsig
	.addrsig_sym __hip_cuid_b8340081e3a43d30
	.amdgpu_metadata
---
amdhsa.kernels:
  - .args:
      - .actual_access:  read_only
        .address_space:  global
        .offset:         0
        .size:           8
        .value_kind:     global_buffer
      - .actual_access:  read_only
        .address_space:  global
        .offset:         8
        .size:           8
        .value_kind:     global_buffer
      - .actual_access:  read_only
        .address_space:  global
        .offset:         16
        .size:           8
        .value_kind:     global_buffer
      - .actual_access:  read_only
        .address_space:  global
        .offset:         24
        .size:           8
        .value_kind:     global_buffer
      - .actual_access:  read_only
        .address_space:  global
        .offset:         32
        .size:           8
        .value_kind:     global_buffer
      - .offset:         40
        .size:           8
        .value_kind:     by_value
      - .address_space:  global
        .offset:         48
        .size:           8
        .value_kind:     global_buffer
      - .address_space:  global
        .offset:         56
        .size:           8
        .value_kind:     global_buffer
      - .address_space:  global
        .offset:         64
        .size:           8
        .value_kind:     global_buffer
      - .address_space:  global
        .offset:         72
        .size:           8
        .value_kind:     global_buffer
      - .offset:         80
        .size:           4
        .value_kind:     by_value
      - .address_space:  global
        .offset:         88
        .size:           8
        .value_kind:     global_buffer
      - .address_space:  global
        .offset:         96
        .size:           8
        .value_kind:     global_buffer
    .group_segment_fixed_size: 7056
    .kernarg_segment_align: 8
    .kernarg_segment_size: 104
    .language:       OpenCL C
    .language_version:
      - 2
      - 0
    .max_flat_workgroup_size: 252
    .name:           bluestein_single_fwd_len98_dim1_half_op_CI_CI
    .private_segment_fixed_size: 0
    .sgpr_count:     20
    .sgpr_spill_count: 0
    .symbol:         bluestein_single_fwd_len98_dim1_half_op_CI_CI.kd
    .uniform_work_group_size: 1
    .uses_dynamic_stack: false
    .vgpr_count:     79
    .vgpr_spill_count: 0
    .wavefront_size: 32
    .workgroup_processor_mode: 1
amdhsa.target:   amdgcn-amd-amdhsa--gfx1201
amdhsa.version:
  - 1
  - 2
...

	.end_amdgpu_metadata
